;; amdgpu-corpus repo=ROCm/composable_kernel kind=compiled arch=gfx90a opt=O3
	.text
	.amdgcn_target "amdgcn-amd-amdhsa--gfx90a"
	.amdhsa_code_object_version 6
	.section	.text._ZN2ckL12flush_icacheEv,"axG",@progbits,_ZN2ckL12flush_icacheEv,comdat
	.globl	_ZN2ckL12flush_icacheEv         ; -- Begin function _ZN2ckL12flush_icacheEv
	.p2align	8
	.type	_ZN2ckL12flush_icacheEv,@function
_ZN2ckL12flush_icacheEv:                ; @_ZN2ckL12flush_icacheEv
; %bb.0:
	;;#ASMSTART
	s_icache_inv 
	s_nop 0 
	s_nop 0 
	;; [unrolled: 1-line block ×16, first 2 shown]
	
	;;#ASMEND
	s_endpgm
	.section	.rodata,"a",@progbits
	.p2align	6, 0x0
	.amdhsa_kernel _ZN2ckL12flush_icacheEv
		.amdhsa_group_segment_fixed_size 0
		.amdhsa_private_segment_fixed_size 0
		.amdhsa_kernarg_size 0
		.amdhsa_user_sgpr_count 4
		.amdhsa_user_sgpr_private_segment_buffer 1
		.amdhsa_user_sgpr_dispatch_ptr 0
		.amdhsa_user_sgpr_queue_ptr 0
		.amdhsa_user_sgpr_kernarg_segment_ptr 0
		.amdhsa_user_sgpr_dispatch_id 0
		.amdhsa_user_sgpr_flat_scratch_init 0
		.amdhsa_user_sgpr_kernarg_preload_length 0
		.amdhsa_user_sgpr_kernarg_preload_offset 0
		.amdhsa_user_sgpr_private_segment_size 0
		.amdhsa_uses_dynamic_stack 0
		.amdhsa_system_sgpr_private_segment_wavefront_offset 0
		.amdhsa_system_sgpr_workgroup_id_x 1
		.amdhsa_system_sgpr_workgroup_id_y 0
		.amdhsa_system_sgpr_workgroup_id_z 0
		.amdhsa_system_sgpr_workgroup_info 0
		.amdhsa_system_vgpr_workitem_id 0
		.amdhsa_next_free_vgpr 1
		.amdhsa_next_free_sgpr 0
		.amdhsa_accum_offset 4
		.amdhsa_reserve_vcc 0
		.amdhsa_reserve_flat_scratch 0
		.amdhsa_float_round_mode_32 0
		.amdhsa_float_round_mode_16_64 0
		.amdhsa_float_denorm_mode_32 3
		.amdhsa_float_denorm_mode_16_64 3
		.amdhsa_dx10_clamp 1
		.amdhsa_ieee_mode 1
		.amdhsa_fp16_overflow 0
		.amdhsa_tg_split 0
		.amdhsa_exception_fp_ieee_invalid_op 0
		.amdhsa_exception_fp_denorm_src 0
		.amdhsa_exception_fp_ieee_div_zero 0
		.amdhsa_exception_fp_ieee_overflow 0
		.amdhsa_exception_fp_ieee_underflow 0
		.amdhsa_exception_fp_ieee_inexact 0
		.amdhsa_exception_int_div_zero 0
	.end_amdhsa_kernel
	.section	.text._ZN2ckL12flush_icacheEv,"axG",@progbits,_ZN2ckL12flush_icacheEv,comdat
.Lfunc_end0:
	.size	_ZN2ckL12flush_icacheEv, .Lfunc_end0-_ZN2ckL12flush_icacheEv
                                        ; -- End function
	.section	.AMDGPU.csdata,"",@progbits
; Kernel info:
; codeLenInByte = 140
; NumSgprs: 4
; NumVgprs: 0
; NumAgprs: 0
; TotalNumVgprs: 0
; ScratchSize: 0
; MemoryBound: 0
; FloatMode: 240
; IeeeMode: 1
; LDSByteSize: 0 bytes/workgroup (compile time only)
; SGPRBlocks: 0
; VGPRBlocks: 0
; NumSGPRsForWavesPerEU: 4
; NumVGPRsForWavesPerEU: 1
; AccumOffset: 4
; Occupancy: 8
; WaveLimiterHint : 0
; COMPUTE_PGM_RSRC2:SCRATCH_EN: 0
; COMPUTE_PGM_RSRC2:USER_SGPR: 4
; COMPUTE_PGM_RSRC2:TRAP_HANDLER: 0
; COMPUTE_PGM_RSRC2:TGID_X_EN: 1
; COMPUTE_PGM_RSRC2:TGID_Y_EN: 0
; COMPUTE_PGM_RSRC2:TGID_Z_EN: 0
; COMPUTE_PGM_RSRC2:TIDIG_COMP_CNT: 0
; COMPUTE_PGM_RSRC3_GFX90A:ACCUM_OFFSET: 0
; COMPUTE_PGM_RSRC3_GFX90A:TG_SPLIT: 0
	.section	.text._ZN2ck27kernel_gemm_xdl_cshuffle_v1INS_43GridwiseGemm_k0mk1_k0nk1_mn_xdl_cshuffle_v1INS_13tensor_layout4gemm8RowMajorENS3_11ColumnMajorES4_aaiaaNS_16tensor_operation12element_wise11PassThroughES8_S8_LNS6_6device18GemmSpecializationE0ELNS_25InMemoryDataOperationEnumE0ELi1ELi256ELi256ELi128ELi64ELi16ELi16ELi16ELi16ELi8ELi4ENS_8SequenceIJLi4ELi64ELi1EEEENSC_IJLi1ELi0ELi2EEEESE_Li2ELi16ELi16ELb0ELi1ESD_SE_SE_Li2ELi8ELi8ELb0ELi1ELi1ELi1ENSC_IJLi1ELi32ELi1ELi8EEEELi4ELNS_13LoopSchedulerE0ELNS_15PipelineVersionE0EaaEELb1EEEvNT_8ArgumentE,"axG",@progbits,_ZN2ck27kernel_gemm_xdl_cshuffle_v1INS_43GridwiseGemm_k0mk1_k0nk1_mn_xdl_cshuffle_v1INS_13tensor_layout4gemm8RowMajorENS3_11ColumnMajorES4_aaiaaNS_16tensor_operation12element_wise11PassThroughES8_S8_LNS6_6device18GemmSpecializationE0ELNS_25InMemoryDataOperationEnumE0ELi1ELi256ELi256ELi128ELi64ELi16ELi16ELi16ELi16ELi8ELi4ENS_8SequenceIJLi4ELi64ELi1EEEENSC_IJLi1ELi0ELi2EEEESE_Li2ELi16ELi16ELb0ELi1ESD_SE_SE_Li2ELi8ELi8ELb0ELi1ELi1ELi1ENSC_IJLi1ELi32ELi1ELi8EEEELi4ELNS_13LoopSchedulerE0ELNS_15PipelineVersionE0EaaEELb1EEEvNT_8ArgumentE,comdat
	.protected	_ZN2ck27kernel_gemm_xdl_cshuffle_v1INS_43GridwiseGemm_k0mk1_k0nk1_mn_xdl_cshuffle_v1INS_13tensor_layout4gemm8RowMajorENS3_11ColumnMajorES4_aaiaaNS_16tensor_operation12element_wise11PassThroughES8_S8_LNS6_6device18GemmSpecializationE0ELNS_25InMemoryDataOperationEnumE0ELi1ELi256ELi256ELi128ELi64ELi16ELi16ELi16ELi16ELi8ELi4ENS_8SequenceIJLi4ELi64ELi1EEEENSC_IJLi1ELi0ELi2EEEESE_Li2ELi16ELi16ELb0ELi1ESD_SE_SE_Li2ELi8ELi8ELb0ELi1ELi1ELi1ENSC_IJLi1ELi32ELi1ELi8EEEELi4ELNS_13LoopSchedulerE0ELNS_15PipelineVersionE0EaaEELb1EEEvNT_8ArgumentE ; -- Begin function _ZN2ck27kernel_gemm_xdl_cshuffle_v1INS_43GridwiseGemm_k0mk1_k0nk1_mn_xdl_cshuffle_v1INS_13tensor_layout4gemm8RowMajorENS3_11ColumnMajorES4_aaiaaNS_16tensor_operation12element_wise11PassThroughES8_S8_LNS6_6device18GemmSpecializationE0ELNS_25InMemoryDataOperationEnumE0ELi1ELi256ELi256ELi128ELi64ELi16ELi16ELi16ELi16ELi8ELi4ENS_8SequenceIJLi4ELi64ELi1EEEENSC_IJLi1ELi0ELi2EEEESE_Li2ELi16ELi16ELb0ELi1ESD_SE_SE_Li2ELi8ELi8ELb0ELi1ELi1ELi1ENSC_IJLi1ELi32ELi1ELi8EEEELi4ELNS_13LoopSchedulerE0ELNS_15PipelineVersionE0EaaEELb1EEEvNT_8ArgumentE
	.globl	_ZN2ck27kernel_gemm_xdl_cshuffle_v1INS_43GridwiseGemm_k0mk1_k0nk1_mn_xdl_cshuffle_v1INS_13tensor_layout4gemm8RowMajorENS3_11ColumnMajorES4_aaiaaNS_16tensor_operation12element_wise11PassThroughES8_S8_LNS6_6device18GemmSpecializationE0ELNS_25InMemoryDataOperationEnumE0ELi1ELi256ELi256ELi128ELi64ELi16ELi16ELi16ELi16ELi8ELi4ENS_8SequenceIJLi4ELi64ELi1EEEENSC_IJLi1ELi0ELi2EEEESE_Li2ELi16ELi16ELb0ELi1ESD_SE_SE_Li2ELi8ELi8ELb0ELi1ELi1ELi1ENSC_IJLi1ELi32ELi1ELi8EEEELi4ELNS_13LoopSchedulerE0ELNS_15PipelineVersionE0EaaEELb1EEEvNT_8ArgumentE
	.p2align	8
	.type	_ZN2ck27kernel_gemm_xdl_cshuffle_v1INS_43GridwiseGemm_k0mk1_k0nk1_mn_xdl_cshuffle_v1INS_13tensor_layout4gemm8RowMajorENS3_11ColumnMajorES4_aaiaaNS_16tensor_operation12element_wise11PassThroughES8_S8_LNS6_6device18GemmSpecializationE0ELNS_25InMemoryDataOperationEnumE0ELi1ELi256ELi256ELi128ELi64ELi16ELi16ELi16ELi16ELi8ELi4ENS_8SequenceIJLi4ELi64ELi1EEEENSC_IJLi1ELi0ELi2EEEESE_Li2ELi16ELi16ELb0ELi1ESD_SE_SE_Li2ELi8ELi8ELb0ELi1ELi1ELi1ENSC_IJLi1ELi32ELi1ELi8EEEELi4ELNS_13LoopSchedulerE0ELNS_15PipelineVersionE0EaaEELb1EEEvNT_8ArgumentE,@function
_ZN2ck27kernel_gemm_xdl_cshuffle_v1INS_43GridwiseGemm_k0mk1_k0nk1_mn_xdl_cshuffle_v1INS_13tensor_layout4gemm8RowMajorENS3_11ColumnMajorES4_aaiaaNS_16tensor_operation12element_wise11PassThroughES8_S8_LNS6_6device18GemmSpecializationE0ELNS_25InMemoryDataOperationEnumE0ELi1ELi256ELi256ELi128ELi64ELi16ELi16ELi16ELi16ELi8ELi4ENS_8SequenceIJLi4ELi64ELi1EEEENSC_IJLi1ELi0ELi2EEEESE_Li2ELi16ELi16ELb0ELi1ESD_SE_SE_Li2ELi8ELi8ELb0ELi1ELi1ELi1ENSC_IJLi1ELi32ELi1ELi8EEEELi4ELNS_13LoopSchedulerE0ELNS_15PipelineVersionE0EaaEELb1EEEvNT_8ArgumentE: ; @_ZN2ck27kernel_gemm_xdl_cshuffle_v1INS_43GridwiseGemm_k0mk1_k0nk1_mn_xdl_cshuffle_v1INS_13tensor_layout4gemm8RowMajorENS3_11ColumnMajorES4_aaiaaNS_16tensor_operation12element_wise11PassThroughES8_S8_LNS6_6device18GemmSpecializationE0ELNS_25InMemoryDataOperationEnumE0ELi1ELi256ELi256ELi128ELi64ELi16ELi16ELi16ELi16ELi8ELi4ENS_8SequenceIJLi4ELi64ELi1EEEENSC_IJLi1ELi0ELi2EEEESE_Li2ELi16ELi16ELb0ELi1ESD_SE_SE_Li2ELi8ELi8ELb0ELi1ELi1ELi1ENSC_IJLi1ELi32ELi1ELi8EEEELi4ELNS_13LoopSchedulerE0ELNS_15PipelineVersionE0EaaEELb1EEEvNT_8ArgumentE
; %bb.0:
	s_load_dwordx4 s[0:3], s[4:5], 0x10
	s_load_dwordx2 s[20:21], s[4:5], 0x20
	s_add_u32 s7, 0, 0
	s_load_dwordx4 s[16:19], s[4:5], 0x48
	v_and_b32_e32 v26, 0xfc, v0
	s_waitcnt lgkmcnt(0)
	s_addc_u32 s22, s0, -1
	s_add_u32 s8, 0, 0
	s_addc_u32 s8, s1, -1
	s_addk_i32 s0, 0xff
	s_ashr_i32 s10, s0, 31
	s_add_i32 s9, s1, 0x7f
	s_lshr_b32 s10, s10, 24
	s_add_i32 s0, s0, s10
	s_ashr_i32 s10, s9, 31
	s_lshr_b32 s10, s10, 25
	s_add_i32 s9, s9, s10
	s_ashr_i32 s0, s0, 8
	s_ashr_i32 s9, s9, 7
	s_mul_i32 s10, s9, s0
	s_abs_i32 s10, s10
	v_cvt_f32_u32_e32 v1, s10
	s_sub_i32 s12, 0, s10
	s_ashr_i32 s11, s6, 31
	s_abs_i32 s6, s6
	v_rcp_iflag_f32_e32 v1, v1
	v_and_b32_e32 v27, 3, v0
	v_lshrrev_b32_e32 v2, 1, v0
	v_lshlrev_b32_e32 v164, 4, v27
	v_mul_f32_e32 v1, 0x4f7ffffe, v1
	v_cvt_u32_f32_e32 v1, v1
	v_and_b32_e32 v30, 0x7e, v2
	v_bfe_u32 v33, v0, 4, 2
	v_lshlrev_b32_e32 v162, 2, v0
	v_readfirstlane_b32 s13, v1
	s_mul_i32 s12, s12, s13
	s_mul_hi_u32 s12, s13, s12
	s_add_i32 s13, s13, s12
	s_mul_hi_u32 s12, s6, s13
	s_mul_i32 s12, s12, s10
	s_sub_i32 s6, s6, s12
	s_sub_i32 s12, s6, s10
	s_cmp_ge_u32 s6, s10
	s_cselect_b32 s6, s12, s6
	s_sub_i32 s12, s6, s10
	s_cmp_ge_u32 s6, s10
	s_cselect_b32 s6, s12, s6
	s_abs_i32 s10, s9
	v_cvt_f32_u32_e32 v1, s10
	s_sub_i32 s14, 0, s10
	s_xor_b32 s6, s6, s11
	s_sub_i32 s6, s6, s11
	v_rcp_iflag_f32_e32 v1, v1
	s_abs_i32 s11, s6
	s_mul_i32 s13, s8, s20
	s_xor_b32 s8, s6, s9
	v_mul_f32_e32 v1, 0x4f7ffffe, v1
	v_cvt_u32_f32_e32 v1, v1
	s_ashr_i32 s8, s8, 31
	s_mul_i32 s12, s22, s3
	v_mul_u32_u24_e32 v34, 0x1010, v27
	v_readfirstlane_b32 s15, v1
	s_mul_i32 s14, s14, s15
	s_mul_hi_u32 s14, s15, s14
	s_add_i32 s15, s15, s14
	s_mul_hi_u32 s14, s11, s15
	s_mul_i32 s15, s14, s10
	s_sub_i32 s11, s11, s15
	s_add_i32 s15, s14, 1
	s_sub_i32 s23, s11, s10
	s_cmp_ge_u32 s11, s10
	s_cselect_b32 s14, s15, s14
	s_cselect_b32 s11, s23, s11
	s_add_i32 s15, s14, 1
	s_cmp_ge_u32 s11, s10
	s_cselect_b32 s10, s15, s14
	s_xor_b32 s10, s10, s8
	s_sub_i32 s8, s10, s8
	s_lshr_b32 s10, s0, 29
	s_add_i32 s10, s0, s10
	s_and_b32 s10, s10, -8
	s_sub_i32 s0, s0, s10
	s_cmp_ge_i32 s8, s10
	s_cselect_b32 s0, s0, 8
	s_abs_i32 s11, s0
	v_cvt_f32_u32_e32 v1, s11
	s_mul_i32 s10, s8, s9
	s_sub_i32 s6, s6, s10
	s_ashr_i32 s10, s8, 31
	v_rcp_iflag_f32_e32 v1, v1
	s_lshr_b32 s10, s10, 29
	s_add_i32 s10, s8, s10
	s_and_b32 s10, s10, -8
	v_mul_f32_e32 v1, 0x4f7ffffe, v1
	v_cvt_u32_f32_e32 v1, v1
	s_sub_i32 s10, s8, s10
	s_sub_i32 s15, 0, s11
	s_mul_i32 s9, s10, s9
	v_readfirstlane_b32 s23, v1
	s_mul_i32 s15, s15, s23
	s_add_i32 s9, s9, s6
	s_mul_hi_u32 s15, s23, s15
	s_abs_i32 s14, s9
	s_add_i32 s23, s23, s15
	s_mul_hi_u32 s15, s14, s23
	s_mul_i32 s23, s15, s11
	s_xor_b32 s6, s9, s0
	s_sub_i32 s14, s14, s23
	s_ashr_i32 s6, s6, 31
	s_add_i32 s23, s15, 1
	s_sub_i32 s24, s14, s11
	s_cmp_ge_u32 s14, s11
	s_cselect_b32 s15, s23, s15
	s_cselect_b32 s14, s24, s14
	s_add_i32 s23, s15, 1
	s_cmp_ge_u32 s14, s11
	s_cselect_b32 s11, s23, s15
	s_xor_b32 s11, s11, s6
	s_sub_i32 s6, s11, s6
	s_mul_i32 s0, s6, s0
	s_sub_i32 s0, s9, s0
	s_add_i32 s0, s0, s8
	s_sub_i32 s0, s0, s10
	s_lshl_b32 s8, s0, 8
	v_add_u32_e32 v28, s8, v26
	s_lshl_b32 s6, s6, 7
	v_mul_lo_u32 v29, v28, s3
	v_add_u32_e32 v1, v29, v164
	v_add_u32_e32 v2, s6, v30
	v_mul_lo_u32 v165, v2, s20
	s_add_i32 s10, s2, s12
	s_mov_b32 s11, 0x20000
	v_add_u32_e32 v10, s3, v1
	s_add_i32 s14, s2, s13
	s_load_dword s2, s[4:5], 0x34
	s_mov_b32 s8, s16
	s_mov_b32 s9, s17
	v_add_u32_e32 v31, v165, v164
	buffer_load_dwordx4 v[2:5], v1, s[8:11], 0 offen
	buffer_load_dwordx4 v[6:9], v10, s[8:11], 0 offen
	v_add_u32_e32 v1, s3, v10
	v_add_u32_e32 v18, s3, v1
	buffer_load_dwordx4 v[10:13], v1, s[8:11], 0 offen
	buffer_load_dwordx4 v[14:17], v18, s[8:11], 0 offen
	s_mov_b32 s12, s18
	s_mov_b32 s13, s19
	;; [unrolled: 1-line block ×3, first 2 shown]
	v_add_u32_e32 v1, s20, v31
	v_add_u32_e32 v32, 8, v1
	buffer_load_dwordx4 v[18:21], v31, s[12:15], 0 offen
	buffer_load_dwordx2 v[22:23], v1, s[12:15], 0 offen
	buffer_load_dwordx2 v[24:25], v32, s[12:15], 0 offen
	s_movk_i32 s16, 0x1010
	v_and_b32_e32 v31, 63, v0
	v_and_b32_e32 v32, 48, v0
	v_lshrrev_b32_e32 v1, 3, v0
	v_lshlrev_b32_e32 v26, 4, v26
	v_mul_u32_u24_e32 v35, 0x810, v27
	v_sub_u32_e32 v31, v31, v32
	v_and_b32_e32 v32, 16, v1
	v_mad_u32_u24 v27, v27, s16, v26
	s_waitcnt lgkmcnt(0)
	s_ashr_i32 s16, s2, 31
	s_load_dwordx2 s[4:5], s[4:5], 0x58
	v_mul_u32_u24_e32 v36, 0x1010, v33
	v_and_b32_e32 v37, 0x100, v162
	v_lshl_add_u32 v167, v30, 4, v35
	v_add_u32_e32 v30, v31, v32
	s_lshr_b32 s16, s16, 30
	s_movk_i32 s17, 0x4030
	v_mul_u32_u24_e32 v33, 0x810, v33
	v_lshl_add_u32 v31, v31, 4, v37
	v_lshl_add_u32 v163, v30, 4, v36
	s_add_i32 s2, s2, s16
	v_add_u32_e32 v30, 3, v28
	v_add3_u32 v166, v31, v33, s17
	s_ashr_i32 s2, s2, 2
	v_add_u32_e32 v28, 2, v28
	v_mad_u64_u32 v[158:159], s[16:17], s3, v30, 64
	s_add_i32 s2, s2, -1
	v_mad_u64_u32 v[160:161], s[16:17], s3, v28, 64
	v_add_u32_e32 v159, 64, v29
	s_max_i32 s2, s2, 1
	v_add_u32_e32 v168, s20, v165
	v_add_u32_e32 v161, s3, v159
	;; [unrolled: 1-line block ×3, first 2 shown]
	s_waitcnt vmcnt(6)
	ds_write_b128 v27, v[2:5]
	s_waitcnt vmcnt(5)
	ds_write_b128 v27, v[6:9] offset:16
	s_waitcnt vmcnt(4)
	ds_write_b128 v27, v[10:13] offset:32
	;; [unrolled: 2-line block ×5, first 2 shown]
	v_mov_b32_e32 v18, 0
	v_mov_b32_e32 v19, v18
	v_mov_b32_e32 v20, v18
	v_mov_b32_e32 v21, v18
	v_mov_b32_e32 v22, v18
	v_mov_b32_e32 v23, v18
	v_mov_b32_e32 v24, v18
	v_mov_b32_e32 v25, v18
	v_mov_b32_e32 v2, v18
	v_mov_b32_e32 v3, v18
	v_mov_b32_e32 v4, v18
	v_mov_b32_e32 v5, v18
	v_mov_b32_e32 v6, v18
	v_mov_b32_e32 v7, v18
	v_mov_b32_e32 v8, v18
	v_mov_b32_e32 v9, v18
	v_mov_b32_e32 v10, v18
	v_mov_b32_e32 v11, v18
	v_mov_b32_e32 v12, v18
	v_mov_b32_e32 v13, v18
	v_mov_b32_e32 v14, v18
	v_mov_b32_e32 v15, v18
	v_mov_b32_e32 v16, v18
	v_mov_b32_e32 v17, v18
	v_mov_b32_e32 v26, v18
	v_mov_b32_e32 v27, v18
	v_mov_b32_e32 v28, v18
	v_mov_b32_e32 v29, v18
	v_mov_b32_e32 v30, v18
	v_mov_b32_e32 v31, v18
	v_mov_b32_e32 v32, v18
	v_mov_b32_e32 v33, v18
	v_mov_b32_e32 v34, v18
	v_mov_b32_e32 v35, v18
	v_mov_b32_e32 v36, v18
	v_mov_b32_e32 v37, v18
	v_mov_b32_e32 v38, v18
	v_mov_b32_e32 v39, v18
	v_mov_b32_e32 v40, v18
	v_mov_b32_e32 v41, v18
	v_mov_b32_e32 v42, v18
	v_mov_b32_e32 v43, v18
	v_mov_b32_e32 v44, v18
	v_mov_b32_e32 v45, v18
	v_mov_b32_e32 v46, v18
	v_mov_b32_e32 v47, v18
	v_mov_b32_e32 v48, v18
	v_mov_b32_e32 v49, v18
	v_mov_b32_e32 v50, v18
	v_mov_b32_e32 v51, v18
	v_mov_b32_e32 v52, v18
	v_mov_b32_e32 v53, v18
	v_mov_b32_e32 v54, v18
	v_mov_b32_e32 v55, v18
	v_mov_b32_e32 v56, v18
	v_mov_b32_e32 v57, v18
	v_mov_b32_e32 v58, v18
	v_mov_b32_e32 v59, v18
	v_mov_b32_e32 v60, v18
	v_mov_b32_e32 v61, v18
	v_mov_b32_e32 v62, v18
	v_mov_b32_e32 v63, v18
	v_mov_b32_e32 v64, v18
	v_mov_b32_e32 v65, v18
	v_mov_b32_e32 v66, v18
	v_mov_b32_e32 v67, v18
	v_mov_b32_e32 v68, v18
	v_mov_b32_e32 v69, v18
	v_mov_b32_e32 v70, v18
	v_mov_b32_e32 v71, v18
	v_mov_b32_e32 v72, v18
	v_mov_b32_e32 v73, v18
	v_mov_b32_e32 v74, v18
	v_mov_b32_e32 v75, v18
	v_mov_b32_e32 v76, v18
	v_mov_b32_e32 v77, v18
	v_mov_b32_e32 v78, v18
	v_mov_b32_e32 v79, v18
	v_mov_b32_e32 v80, v18
	v_mov_b32_e32 v81, v18
	v_mov_b32_e32 v82, v18
	v_mov_b32_e32 v83, v18
	v_mov_b32_e32 v84, v18
	v_mov_b32_e32 v85, v18
	v_mov_b32_e32 v86, v18
	v_mov_b32_e32 v87, v18
	v_mov_b32_e32 v88, v18
	v_mov_b32_e32 v89, v18
	v_mov_b32_e32 v90, v18
	v_mov_b32_e32 v91, v18
	v_mov_b32_e32 v92, v18
	v_mov_b32_e32 v93, v18
	v_mov_b32_e32 v94, v18
	v_mov_b32_e32 v95, v18
	v_mov_b32_e32 v96, v18
	v_mov_b32_e32 v97, v18
	v_mov_b32_e32 v98, v18
	v_mov_b32_e32 v99, v18
	v_mov_b32_e32 v100, v18
	v_mov_b32_e32 v101, v18
	v_mov_b32_e32 v102, v18
	v_mov_b32_e32 v103, v18
	v_mov_b32_e32 v104, v18
	v_mov_b32_e32 v105, v18
	v_mov_b32_e32 v106, v18
	v_mov_b32_e32 v107, v18
	v_mov_b32_e32 v108, v18
	v_mov_b32_e32 v109, v18
	v_mov_b32_e32 v110, v18
	v_mov_b32_e32 v111, v18
	v_mov_b32_e32 v112, v18
	v_mov_b32_e32 v113, v18
	v_mov_b32_e32 v114, v18
	v_mov_b32_e32 v115, v18
	v_mov_b32_e32 v116, v18
	v_mov_b32_e32 v117, v18
	v_mov_b32_e32 v118, v18
	v_mov_b32_e32 v119, v18
	v_mov_b32_e32 v120, v18
	v_mov_b32_e32 v121, v18
	v_mov_b32_e32 v122, v18
	v_mov_b32_e32 v123, v18
	v_mov_b32_e32 v124, v18
	v_mov_b32_e32 v125, v18
	v_mov_b32_e32 v126, v18
	v_mov_b32_e32 v127, v18
	v_mov_b32_e32 v128, v18
	v_mov_b32_e32 v129, v18
.LBB1_1:                                ; =>This Inner Loop Header: Depth=1
	v_add_u32_e32 v130, v164, v159
	v_add_u32_e32 v134, v164, v161
	;; [unrolled: 1-line block ×4, first 2 shown]
	buffer_load_dwordx4 v[130:133], v130, s[8:11], 0 offen
	s_nop 0
	buffer_load_dwordx4 v[134:137], v134, s[8:11], 0 offen
	s_nop 0
	;; [unrolled: 2-line block ×3, first 2 shown]
	buffer_load_dwordx4 v[142:145], v142, s[8:11], 0 offen
	s_waitcnt lgkmcnt(0)
	s_barrier
	ds_read_b128 v[170:173], v163
	ds_read_b128 v[174:177], v166
	ds_read_b128 v[178:181], v166 offset:512
	ds_read_b128 v[182:185], v163 offset:512
	;; [unrolled: 1-line block ×10, first 2 shown]
	s_waitcnt lgkmcnt(10)
	v_mfma_i32_16x16x16i8 v[126:129], v170, v174, v[126:129]
	s_add_i32 s2, s2, -1
	v_add_u32_e32 v158, 64, v158
	v_add_u32_e32 v160, 64, v160
	;; [unrolled: 1-line block ×4, first 2 shown]
	s_cmp_lg_u32 s2, 0
	s_waitcnt lgkmcnt(9)
	v_mfma_i32_16x16x16i8 v[122:125], v170, v178, v[122:125]
	s_waitcnt lgkmcnt(7)
	v_mfma_i32_16x16x16i8 v[118:121], v170, v150, v[118:121]
	;; [unrolled: 2-line block ×3, first 2 shown]
	v_mfma_i32_16x16x16i8 v[110:113], v182, v174, v[110:113]
	s_waitcnt lgkmcnt(5)
	v_mfma_i32_16x16x16i8 v[94:97], v186, v174, v[94:97]
	s_waitcnt lgkmcnt(4)
	v_mfma_i32_16x16x16i8 v[78:81], v190, v174, v[78:81]
	s_waitcnt lgkmcnt(3)
	v_mfma_i32_16x16x16i8 v[62:65], v194, v174, v[62:65]
	s_waitcnt lgkmcnt(2)
	v_mfma_i32_16x16x16i8 v[46:49], v198, v174, v[46:49]
	s_waitcnt lgkmcnt(1)
	v_mfma_i32_16x16x16i8 v[30:33], v202, v174, v[30:33]
	s_waitcnt lgkmcnt(0)
	v_mfma_i32_16x16x16i8 v[6:9], v154, v174, v[6:9]
	v_mfma_i32_16x16x16i8 v[126:129], v171, v175, v[126:129]
	;; [unrolled: 1-line block ×19, first 2 shown]
	v_add_u32_e32 v146, v164, v165
	v_add_u32_e32 v165, 64, v165
	v_mfma_i32_16x16x16i8 v[126:129], v172, v176, v[126:129]
	v_mfma_i32_16x16x16i8 v[122:125], v172, v180, v[122:125]
	;; [unrolled: 1-line block ×18, first 2 shown]
	v_add_u32_e32 v147, v164, v168
	v_add_u32_e32 v168, 64, v168
	v_mfma_i32_16x16x16i8 v[126:129], v173, v177, v[126:129]
	v_mfma_i32_16x16x16i8 v[122:125], v173, v181, v[122:125]
	;; [unrolled: 1-line block ×4, first 2 shown]
	buffer_load_dwordx4 v[170:173], v146, s[12:15], 0 offen offset:64
	v_mfma_i32_16x16x16i8 v[110:113], v185, v177, v[110:113]
	v_mfma_i32_16x16x16i8 v[94:97], v189, v177, v[94:97]
	;; [unrolled: 1-line block ×7, first 2 shown]
	buffer_load_dwordx4 v[174:177], v147, s[12:15], 0 offen offset:64
	s_waitcnt lgkmcnt(0)
	s_barrier
	s_waitcnt vmcnt(5)
	ds_write_b128 v169, v[130:133]
	s_waitcnt vmcnt(4)
	ds_write_b128 v169, v[134:137] offset:16
	s_waitcnt vmcnt(3)
	ds_write_b128 v169, v[138:141] offset:32
	;; [unrolled: 2-line block ×5, first 2 shown]
	v_mfma_i32_16x16x16i8 v[106:109], v182, v178, v[106:109]
	v_mfma_i32_16x16x16i8 v[102:105], v182, v150, v[102:105]
	;; [unrolled: 1-line block ×70, first 2 shown]
	s_cbranch_scc1 .LBB1_1
; %bb.2:
	s_waitcnt lgkmcnt(0)
	s_barrier
	ds_read_b128 v[138:141], v163
	ds_read_b128 v[130:133], v166
	ds_read_b128 v[134:137], v166 offset:512
	ds_read_b128 v[142:145], v163 offset:512
	s_waitcnt lgkmcnt(2)
	v_mfma_i32_16x16x16i8 v[126:129], v138, v130, v[126:129]
	s_mul_i32 s22, s22, s21
	s_mul_hi_u32 s2, s7, s21
	s_add_i32 s7, s2, s22
	s_movk_i32 s2, 0x180
	v_and_b32_e32 v164, 0x200, v162
	s_waitcnt lgkmcnt(1)
	v_mfma_i32_16x16x16i8 v[122:125], v138, v134, v[122:125]
	v_mfma_i32_16x16x16i8 v[126:129], v139, v131, v[126:129]
	v_mfma_i32_16x16x16i8 v[122:125], v139, v135, v[122:125]
	v_mfma_i32_16x16x16i8 v[126:129], v140, v132, v[126:129]
	v_mfma_i32_16x16x16i8 v[122:125], v140, v136, v[122:125]
	v_mfma_i32_16x16x16i8 v[146:149], v141, v133, v[126:129]
	v_mfma_i32_16x16x16i8 v[150:153], v141, v137, v[122:125]
	s_nop 7
	s_nop 0
	ds_read_b128 v[122:125], v166 offset:1024
	ds_read_b128 v[126:129], v166 offset:1536
	s_waitcnt lgkmcnt(1)
	v_mfma_i32_16x16x16i8 v[118:121], v138, v122, v[118:121]
	s_waitcnt lgkmcnt(0)
	v_mfma_i32_16x16x16i8 v[114:117], v138, v126, v[114:117]
	v_mfma_i32_16x16x16i8 v[110:113], v142, v130, v[110:113]
	;; [unrolled: 1-line block ×23, first 2 shown]
	ds_read_b128 v[138:141], v163 offset:1024
	ds_read_b128 v[142:145], v163 offset:1536
	s_waitcnt lgkmcnt(1)
	v_mfma_i32_16x16x16i8 v[94:97], v138, v130, v[94:97]
	v_mfma_i32_16x16x16i8 v[90:93], v138, v134, v[90:93]
	v_mfma_i32_16x16x16i8 v[86:89], v138, v122, v[86:89]
	v_mfma_i32_16x16x16i8 v[82:85], v138, v126, v[82:85]
	s_waitcnt lgkmcnt(0)
	v_mfma_i32_16x16x16i8 v[78:81], v142, v130, v[78:81]
	v_mfma_i32_16x16x16i8 v[74:77], v142, v134, v[74:77]
	;; [unrolled: 1-line block ×28, first 2 shown]
	ds_read_b128 v[138:141], v163 offset:2048
	ds_read_b128 v[142:145], v163 offset:2560
	s_waitcnt lgkmcnt(1)
	v_mfma_i32_16x16x16i8 v[62:65], v138, v130, v[62:65]
	v_mfma_i32_16x16x16i8 v[58:61], v138, v134, v[58:61]
	;; [unrolled: 1-line block ×10, first 2 shown]
	v_and_b32_e32 v138, 15, v0
	v_mfma_i32_16x16x16i8 v[70:73], v141, v133, v[62:65]
	v_mfma_i32_16x16x16i8 v[66:69], v141, v137, v[58:61]
	;; [unrolled: 1-line block ×3, first 2 shown]
	s_nop 5
	ds_read_b128 v[58:61], v163 offset:3072
	ds_read_b128 v[54:57], v163 offset:3584
	v_lshrrev_b32_e32 v163, 2, v0
	v_lshlrev_b32_e32 v0, 3, v0
	v_and_b32_e32 v163, 16, v163
	v_and_or_b32 v0, v0, s2, v138
	v_or3_b32 v138, v0, v164, v163
	v_and_b32_e32 v0, 28, v162
	v_mfma_i32_16x16x16i8 v[50:53], v139, v127, v[50:53]
	v_lshl_or_b32 v139, v1, 5, v0
	v_or_b32_e32 v0, s6, v0
	v_lshl_or_b32 v1, s0, 8, v1
	v_mad_u64_u32 v[0:1], s[2:3], v1, s21, v[0:1]
	s_waitcnt lgkmcnt(0)
	s_barrier
	ds_write_b8 v138, v146
	ds_write_b8 v138, v147 offset:32
	ds_write_b8 v138, v148 offset:64
	;; [unrolled: 1-line block ×3, first 2 shown]
	s_waitcnt lgkmcnt(0)
	s_barrier
	ds_read_b32 v1, v139
	s_add_i32 s2, s1, s7
	s_mov_b32 s3, 0x20000
	s_mov_b32 s0, s4
	s_mov_b32 s1, s5
	s_waitcnt lgkmcnt(0)
	buffer_store_dword v1, v0, s[0:3], 0 offen
	s_waitcnt lgkmcnt(0)
	s_barrier
	ds_write_b8 v138, v150
	ds_write_b8 v138, v151 offset:32
	ds_write_b8 v138, v152 offset:64
	;; [unrolled: 1-line block ×3, first 2 shown]
	s_waitcnt lgkmcnt(0)
	s_barrier
	ds_read_b32 v1, v139
	s_lshl_b32 s4, s21, 5
	v_mfma_i32_16x16x16i8 v[34:37], v142, v126, v[34:37]
	s_waitcnt lgkmcnt(0)
	buffer_store_dword v1, v0, s[0:3], 0 offen offset:32
	s_waitcnt lgkmcnt(0)
	s_barrier
	ds_write_b8 v138, v118
	ds_write_b8 v138, v119 offset:32
	ds_write_b8 v138, v120 offset:64
	ds_write_b8 v138, v121 offset:96
	s_waitcnt lgkmcnt(0)
	s_barrier
	ds_read_b32 v1, v139
	v_mfma_i32_16x16x16i8 v[38:41], v142, v122, v[38:41]
	s_waitcnt lgkmcnt(0)
	buffer_store_dword v1, v0, s[0:3], 0 offen offset:64
	s_waitcnt lgkmcnt(0)
	s_barrier
	ds_write_b8 v138, v114
	ds_write_b8 v138, v115 offset:32
	ds_write_b8 v138, v116 offset:64
	ds_write_b8 v138, v117 offset:96
	s_waitcnt lgkmcnt(0)
	s_barrier
	ds_read_b32 v1, v139
	;; [unrolled: 12-line block ×3, first 2 shown]
	v_add_u32_e32 v0, s4, v0
	v_add_u32_e32 v98, 0x60, v0
	v_mfma_i32_16x16x16i8 v[42:45], v142, v134, v[42:45]
	s_waitcnt lgkmcnt(0)
	buffer_store_dword v1, v98, s[0:3], 0 offen
	s_waitcnt lgkmcnt(0)
	s_barrier
	ds_write_b8 v138, v102
	ds_write_b8 v138, v103 offset:32
	ds_write_b8 v138, v104 offset:64
	ds_write_b8 v138, v105 offset:96
	s_waitcnt lgkmcnt(0)
	s_barrier
	ds_read_b32 v1, v139
	v_add_u32_e32 v98, 64, v0
	v_mfma_i32_16x16x16i8 v[50:53], v140, v128, v[50:53]
	s_waitcnt lgkmcnt(0)
	buffer_store_dword v1, v98, s[0:3], 0 offen
	s_waitcnt lgkmcnt(0)
	s_barrier
	ds_write_b8 v138, v106
	ds_write_b8 v138, v107 offset:32
	ds_write_b8 v138, v108 offset:64
	ds_write_b8 v138, v109 offset:96
	s_waitcnt lgkmcnt(0)
	s_barrier
	ds_read_b32 v1, v139
	;; [unrolled: 13-line block ×3, first 2 shown]
	v_mfma_i32_16x16x16i8 v[46:49], v142, v130, v[46:49]
	s_waitcnt lgkmcnt(0)
	buffer_store_dword v1, v0, s[0:3], 0 offen
	s_waitcnt lgkmcnt(0)
	s_barrier
	ds_write_b8 v138, v154
	ds_write_b8 v138, v155 offset:32
	ds_write_b8 v138, v156 offset:64
	;; [unrolled: 1-line block ×3, first 2 shown]
	s_waitcnt lgkmcnt(0)
	s_barrier
	ds_read_b32 v1, v139
	v_add_u32_e32 v0, s4, v0
	v_mfma_i32_16x16x16i8 v[34:37], v144, v128, v[34:37]
	s_waitcnt lgkmcnt(0)
	buffer_store_dword v1, v0, s[0:3], 0 offen
	s_waitcnt lgkmcnt(0)
	s_barrier
	ds_write_b8 v138, v158
	ds_write_b8 v138, v159 offset:32
	ds_write_b8 v138, v160 offset:64
	ds_write_b8 v138, v161 offset:96
	s_waitcnt lgkmcnt(0)
	s_barrier
	ds_read_b32 v1, v139
	v_mfma_i32_16x16x16i8 v[42:45], v143, v135, v[42:45]
	s_waitcnt lgkmcnt(0)
	buffer_store_dword v1, v0, s[0:3], 0 offen offset:32
	s_waitcnt lgkmcnt(0)
	s_barrier
	ds_write_b8 v138, v94
	ds_write_b8 v138, v95 offset:32
	ds_write_b8 v138, v96 offset:64
	ds_write_b8 v138, v97 offset:96
	s_waitcnt lgkmcnt(0)
	s_barrier
	ds_read_b32 v1, v139
	v_mfma_i32_16x16x16i8 v[50:53], v141, v129, v[50:53]
	s_waitcnt lgkmcnt(0)
	buffer_store_dword v1, v0, s[0:3], 0 offen offset:64
	;; [unrolled: 12-line block ×3, first 2 shown]
	s_waitcnt lgkmcnt(0)
	s_barrier
	ds_write_b8 v138, v90
	ds_write_b8 v138, v91 offset:32
	ds_write_b8 v138, v92 offset:64
	ds_write_b8 v138, v93 offset:96
	s_waitcnt lgkmcnt(0)
	s_barrier
	ds_read_b32 v1, v139
	v_add_u32_e32 v0, s4, v0
	v_add_u32_e32 v86, 0x60, v0
	v_mfma_i32_16x16x16i8 v[38:41], v144, v124, v[38:41]
	s_waitcnt lgkmcnt(0)
	buffer_store_dword v1, v86, s[0:3], 0 offen
	s_waitcnt lgkmcnt(0)
	s_barrier
	ds_write_b8 v138, v82
	ds_write_b8 v138, v83 offset:32
	ds_write_b8 v138, v84 offset:64
	ds_write_b8 v138, v85 offset:96
	s_waitcnt lgkmcnt(0)
	s_barrier
	ds_read_b32 v1, v139
	v_add_u32_e32 v82, 64, v0
	v_mfma_i32_16x16x16i8 v[46:49], v143, v131, v[46:49]
	s_waitcnt lgkmcnt(0)
	buffer_store_dword v1, v82, s[0:3], 0 offen
	s_waitcnt lgkmcnt(0)
	s_barrier
	ds_write_b8 v138, v74
	ds_write_b8 v138, v75 offset:32
	ds_write_b8 v138, v76 offset:64
	ds_write_b8 v138, v77 offset:96
	s_waitcnt lgkmcnt(0)
	s_barrier
	ds_read_b32 v1, v139
	;; [unrolled: 13-line block ×3, first 2 shown]
	v_mfma_i32_16x16x16i8 v[26:29], v58, v134, v[26:29]
	s_waitcnt lgkmcnt(0)
	buffer_store_dword v1, v0, s[0:3], 0 offen
	s_waitcnt lgkmcnt(0)
	s_barrier
	ds_write_b8 v138, v70
	ds_write_b8 v138, v71 offset:32
	ds_write_b8 v138, v72 offset:64
	ds_write_b8 v138, v73 offset:96
	s_waitcnt lgkmcnt(0)
	s_barrier
	ds_read_b32 v1, v139
	v_add_u32_e32 v0, s4, v0
	v_mfma_i32_16x16x16i8 v[42:45], v144, v136, v[42:45]
	s_waitcnt lgkmcnt(0)
	buffer_store_dword v1, v0, s[0:3], 0 offen
	s_waitcnt lgkmcnt(0)
	s_barrier
	ds_write_b8 v138, v66
	ds_write_b8 v138, v67 offset:32
	ds_write_b8 v138, v68 offset:64
	ds_write_b8 v138, v69 offset:96
	s_waitcnt lgkmcnt(0)
	s_barrier
	ds_read_b32 v1, v139
	v_mfma_i32_16x16x16i8 v[30:33], v59, v131, v[30:33]
	s_waitcnt lgkmcnt(0)
	buffer_store_dword v1, v0, s[0:3], 0 offen offset:32
	s_waitcnt lgkmcnt(0)
	s_barrier
	ds_write_b8 v138, v62
	ds_write_b8 v138, v63 offset:32
	ds_write_b8 v138, v64 offset:64
	ds_write_b8 v138, v65 offset:96
	s_waitcnt lgkmcnt(0)
	s_barrier
	ds_read_b32 v1, v139
	v_mfma_i32_16x16x16i8 v[38:41], v145, v125, v[38:41]
	s_waitcnt lgkmcnt(0)
	buffer_store_dword v1, v0, s[0:3], 0 offen offset:64
	;; [unrolled: 12-line block ×3, first 2 shown]
	s_waitcnt lgkmcnt(0)
	s_barrier
	ds_write_b8 v138, v34
	ds_write_b8 v138, v35 offset:32
	ds_write_b8 v138, v36 offset:64
	;; [unrolled: 1-line block ×3, first 2 shown]
	v_mfma_i32_16x16x16i8 v[46:49], v144, v132, v[46:49]
	s_waitcnt lgkmcnt(0)
	s_barrier
	ds_read_b32 v1, v139
	v_add_u32_e32 v34, s4, v0
	v_add_u32_e32 v0, 0x60, v34
	s_waitcnt lgkmcnt(0)
	buffer_store_dword v1, v0, s[0:3], 0 offen
	v_mfma_i32_16x16x16i8 v[26:29], v59, v135, v[26:29]
	s_waitcnt lgkmcnt(0)
	s_barrier
	ds_write_b8 v138, v38
	ds_write_b8 v138, v39 offset:32
	ds_write_b8 v138, v40 offset:64
	;; [unrolled: 1-line block ×3, first 2 shown]
	s_waitcnt lgkmcnt(0)
	s_barrier
	ds_read_b32 v0, v139
	v_mfma_i32_16x16x16i8 v[42:45], v145, v137, v[42:45]
	v_add_u32_e32 v1, 64, v34
	s_waitcnt lgkmcnt(0)
	buffer_store_dword v0, v1, s[0:3], 0 offen
	s_waitcnt lgkmcnt(0)
	s_barrier
	s_nop 5
	ds_write_b8 v138, v42
	ds_write_b8 v138, v43 offset:32
	ds_write_b8 v138, v44 offset:64
	;; [unrolled: 1-line block ×3, first 2 shown]
	v_mfma_i32_16x16x16i8 v[30:33], v60, v132, v[30:33]
	s_waitcnt lgkmcnt(0)
	s_barrier
	ds_read_b32 v0, v139
	v_add_u32_e32 v1, 32, v34
	s_waitcnt lgkmcnt(0)
	buffer_store_dword v0, v1, s[0:3], 0 offen
	v_mfma_i32_16x16x16i8 v[14:17], v59, v123, v[14:17]
	s_waitcnt lgkmcnt(0)
	s_barrier
	v_mfma_i32_16x16x16i8 v[46:49], v145, v133, v[46:49]
	v_mfma_i32_16x16x16i8 v[26:29], v60, v136, v[26:29]
	s_nop 7
	s_nop 1
	ds_write_b8 v138, v46
	ds_write_b8 v138, v47 offset:32
	ds_write_b8 v138, v48 offset:64
	;; [unrolled: 1-line block ×3, first 2 shown]
	s_waitcnt lgkmcnt(0)
	s_barrier
	v_mfma_i32_16x16x16i8 v[30:33], v61, v133, v[30:33]
	v_mfma_i32_16x16x16i8 v[14:17], v60, v124, v[14:17]
	v_mfma_i32_16x16x16i8 v[10:13], v58, v126, v[10:13]
	v_mfma_i32_16x16x16i8 v[0:3], v54, v134, v[2:5]
	s_nop 6
	ds_read_b32 v4, v139
	v_mfma_i32_16x16x16i8 v[26:29], v61, v137, v[26:29]
	v_add_u32_e32 v5, s4, v34
	s_waitcnt lgkmcnt(0)
	buffer_store_dword v4, v34, s[0:3], 0 offen
	s_waitcnt lgkmcnt(0)
	s_barrier
	ds_write_b8 v138, v30
	ds_write_b8 v138, v31 offset:32
	ds_write_b8 v138, v32 offset:64
	;; [unrolled: 1-line block ×3, first 2 shown]
	s_waitcnt lgkmcnt(0)
	s_barrier
	ds_read_b32 v4, v139
	v_mfma_i32_16x16x16i8 v[14:17], v61, v125, v[14:17]
	s_waitcnt lgkmcnt(0)
	buffer_store_dword v4, v5, s[0:3], 0 offen
	s_waitcnt lgkmcnt(0)
	s_barrier
	ds_write_b8 v138, v26
	v_mfma_i32_16x16x16i8 v[10:13], v59, v127, v[10:13]
	ds_write_b8 v138, v27 offset:32
	ds_write_b8 v138, v28 offset:64
	;; [unrolled: 1-line block ×3, first 2 shown]
	s_waitcnt lgkmcnt(0)
	s_barrier
	ds_read_b32 v4, v139
	s_waitcnt lgkmcnt(0)
	buffer_store_dword v4, v5, s[0:3], 0 offen offset:32
	v_mfma_i32_16x16x16i8 v[18:21], v54, v126, v[18:21]
	s_waitcnt lgkmcnt(0)
	s_barrier
	ds_write_b8 v138, v14
	ds_write_b8 v138, v15 offset:32
	ds_write_b8 v138, v16 offset:64
	;; [unrolled: 1-line block ×3, first 2 shown]
	s_waitcnt lgkmcnt(0)
	s_barrier
	ds_read_b32 v4, v139
	s_waitcnt lgkmcnt(0)
	buffer_store_dword v4, v5, s[0:3], 0 offen offset:64
	v_mfma_i32_16x16x16i8 v[10:13], v60, v128, v[10:13]
	s_waitcnt lgkmcnt(0)
	s_barrier
	v_mfma_i32_16x16x16i8 v[14:17], v55, v127, v[18:21]
	v_mfma_i32_16x16x16i8 v[10:13], v61, v129, v[10:13]
	s_nop 7
	s_nop 2
	ds_write_b8 v138, v10
	ds_write_b8 v138, v11 offset:32
	v_mfma_i32_16x16x16i8 v[22:25], v54, v122, v[22:25]
	ds_write_b8 v138, v12 offset:64
	ds_write_b8 v138, v13 offset:96
	s_waitcnt lgkmcnt(0)
	s_barrier
	ds_read_b32 v4, v139
	s_waitcnt lgkmcnt(0)
	buffer_store_dword v4, v5, s[0:3], 0 offen offset:96
	v_mfma_i32_16x16x16i8 v[14:17], v56, v128, v[14:17]
	s_waitcnt lgkmcnt(0)
	s_barrier
	v_add_u32_e32 v5, s4, v5
	v_mfma_i32_16x16x16i8 v[22:25], v55, v123, v[22:25]
	v_mfma_i32_16x16x16i8 v[10:13], v57, v129, v[14:17]
	s_nop 7
	s_nop 2
	ds_write_b8 v138, v10
	ds_write_b8 v138, v11 offset:32
	ds_write_b8 v138, v12 offset:64
	;; [unrolled: 1-line block ×3, first 2 shown]
	v_mfma_i32_16x16x16i8 v[0:3], v55, v135, v[0:3]
	s_waitcnt lgkmcnt(0)
	s_barrier
	ds_read_b32 v4, v139
	v_add_u32_e32 v14, 0x60, v5
	s_waitcnt lgkmcnt(0)
	buffer_store_dword v4, v14, s[0:3], 0 offen
	v_mfma_i32_16x16x16i8 v[10:13], v56, v124, v[22:25]
	s_waitcnt lgkmcnt(0)
	s_barrier
	v_mfma_i32_16x16x16i8 v[6:9], v54, v130, v[6:9]
	v_mfma_i32_16x16x16i8 v[0:3], v56, v136, v[0:3]
	;; [unrolled: 1-line block ×3, first 2 shown]
	s_nop 7
	s_nop 2
	ds_write_b8 v138, v10
	ds_write_b8 v138, v11 offset:32
	ds_write_b8 v138, v12 offset:64
	ds_write_b8 v138, v13 offset:96
	v_mfma_i32_16x16x16i8 v[6:9], v55, v131, v[6:9]
	s_waitcnt lgkmcnt(0)
	s_barrier
	ds_read_b32 v4, v139
	v_add_u32_e32 v10, 64, v5
	s_waitcnt lgkmcnt(0)
	buffer_store_dword v4, v10, s[0:3], 0 offen
	v_mfma_i32_16x16x16i8 v[0:3], v57, v137, v[0:3]
	s_waitcnt lgkmcnt(0)
	s_barrier
	s_nop 7
	s_nop 0
	ds_write_b8 v138, v0
	ds_write_b8 v138, v1 offset:32
	ds_write_b8 v138, v2 offset:64
	;; [unrolled: 1-line block ×3, first 2 shown]
	v_mfma_i32_16x16x16i8 v[0:3], v56, v132, v[6:9]
	s_waitcnt lgkmcnt(0)
	s_barrier
	ds_read_b32 v4, v139
	v_mfma_i32_16x16x16i8 v[0:3], v57, v133, v[0:3]
	s_nop 2
	v_add_u32_e32 v6, 32, v5
	s_waitcnt lgkmcnt(0)
	buffer_store_dword v4, v6, s[0:3], 0 offen
	s_waitcnt lgkmcnt(0)
	s_barrier
	s_nop 2
	ds_write_b8 v138, v0
	ds_write_b8 v138, v1 offset:32
	ds_write_b8 v138, v2 offset:64
	;; [unrolled: 1-line block ×3, first 2 shown]
	s_waitcnt lgkmcnt(0)
	s_barrier
	ds_read_b32 v0, v139
	s_waitcnt lgkmcnt(0)
	buffer_store_dword v0, v5, s[0:3], 0 offen
	s_endpgm
	.section	.rodata,"a",@progbits
	.p2align	6, 0x0
	.amdhsa_kernel _ZN2ck27kernel_gemm_xdl_cshuffle_v1INS_43GridwiseGemm_k0mk1_k0nk1_mn_xdl_cshuffle_v1INS_13tensor_layout4gemm8RowMajorENS3_11ColumnMajorES4_aaiaaNS_16tensor_operation12element_wise11PassThroughES8_S8_LNS6_6device18GemmSpecializationE0ELNS_25InMemoryDataOperationEnumE0ELi1ELi256ELi256ELi128ELi64ELi16ELi16ELi16ELi16ELi8ELi4ENS_8SequenceIJLi4ELi64ELi1EEEENSC_IJLi1ELi0ELi2EEEESE_Li2ELi16ELi16ELb0ELi1ESD_SE_SE_Li2ELi8ELi8ELb0ELi1ELi1ELi1ENSC_IJLi1ELi32ELi1ELi8EEEELi4ELNS_13LoopSchedulerE0ELNS_15PipelineVersionE0EaaEELb1EEEvNT_8ArgumentE
		.amdhsa_group_segment_fixed_size 24672
		.amdhsa_private_segment_fixed_size 0
		.amdhsa_kernarg_size 96
		.amdhsa_user_sgpr_count 6
		.amdhsa_user_sgpr_private_segment_buffer 1
		.amdhsa_user_sgpr_dispatch_ptr 0
		.amdhsa_user_sgpr_queue_ptr 0
		.amdhsa_user_sgpr_kernarg_segment_ptr 1
		.amdhsa_user_sgpr_dispatch_id 0
		.amdhsa_user_sgpr_flat_scratch_init 0
		.amdhsa_user_sgpr_kernarg_preload_length 0
		.amdhsa_user_sgpr_kernarg_preload_offset 0
		.amdhsa_user_sgpr_private_segment_size 0
		.amdhsa_uses_dynamic_stack 0
		.amdhsa_system_sgpr_private_segment_wavefront_offset 0
		.amdhsa_system_sgpr_workgroup_id_x 1
		.amdhsa_system_sgpr_workgroup_id_y 0
		.amdhsa_system_sgpr_workgroup_id_z 0
		.amdhsa_system_sgpr_workgroup_info 0
		.amdhsa_system_vgpr_workitem_id 0
		.amdhsa_next_free_vgpr 206
		.amdhsa_next_free_sgpr 25
		.amdhsa_accum_offset 208
		.amdhsa_reserve_vcc 0
		.amdhsa_reserve_flat_scratch 0
		.amdhsa_float_round_mode_32 0
		.amdhsa_float_round_mode_16_64 0
		.amdhsa_float_denorm_mode_32 3
		.amdhsa_float_denorm_mode_16_64 3
		.amdhsa_dx10_clamp 1
		.amdhsa_ieee_mode 1
		.amdhsa_fp16_overflow 0
		.amdhsa_tg_split 0
		.amdhsa_exception_fp_ieee_invalid_op 0
		.amdhsa_exception_fp_denorm_src 0
		.amdhsa_exception_fp_ieee_div_zero 0
		.amdhsa_exception_fp_ieee_overflow 0
		.amdhsa_exception_fp_ieee_underflow 0
		.amdhsa_exception_fp_ieee_inexact 0
		.amdhsa_exception_int_div_zero 0
	.end_amdhsa_kernel
	.section	.text._ZN2ck27kernel_gemm_xdl_cshuffle_v1INS_43GridwiseGemm_k0mk1_k0nk1_mn_xdl_cshuffle_v1INS_13tensor_layout4gemm8RowMajorENS3_11ColumnMajorES4_aaiaaNS_16tensor_operation12element_wise11PassThroughES8_S8_LNS6_6device18GemmSpecializationE0ELNS_25InMemoryDataOperationEnumE0ELi1ELi256ELi256ELi128ELi64ELi16ELi16ELi16ELi16ELi8ELi4ENS_8SequenceIJLi4ELi64ELi1EEEENSC_IJLi1ELi0ELi2EEEESE_Li2ELi16ELi16ELb0ELi1ESD_SE_SE_Li2ELi8ELi8ELb0ELi1ELi1ELi1ENSC_IJLi1ELi32ELi1ELi8EEEELi4ELNS_13LoopSchedulerE0ELNS_15PipelineVersionE0EaaEELb1EEEvNT_8ArgumentE,"axG",@progbits,_ZN2ck27kernel_gemm_xdl_cshuffle_v1INS_43GridwiseGemm_k0mk1_k0nk1_mn_xdl_cshuffle_v1INS_13tensor_layout4gemm8RowMajorENS3_11ColumnMajorES4_aaiaaNS_16tensor_operation12element_wise11PassThroughES8_S8_LNS6_6device18GemmSpecializationE0ELNS_25InMemoryDataOperationEnumE0ELi1ELi256ELi256ELi128ELi64ELi16ELi16ELi16ELi16ELi8ELi4ENS_8SequenceIJLi4ELi64ELi1EEEENSC_IJLi1ELi0ELi2EEEESE_Li2ELi16ELi16ELb0ELi1ESD_SE_SE_Li2ELi8ELi8ELb0ELi1ELi1ELi1ENSC_IJLi1ELi32ELi1ELi8EEEELi4ELNS_13LoopSchedulerE0ELNS_15PipelineVersionE0EaaEELb1EEEvNT_8ArgumentE,comdat
.Lfunc_end1:
	.size	_ZN2ck27kernel_gemm_xdl_cshuffle_v1INS_43GridwiseGemm_k0mk1_k0nk1_mn_xdl_cshuffle_v1INS_13tensor_layout4gemm8RowMajorENS3_11ColumnMajorES4_aaiaaNS_16tensor_operation12element_wise11PassThroughES8_S8_LNS6_6device18GemmSpecializationE0ELNS_25InMemoryDataOperationEnumE0ELi1ELi256ELi256ELi128ELi64ELi16ELi16ELi16ELi16ELi8ELi4ENS_8SequenceIJLi4ELi64ELi1EEEENSC_IJLi1ELi0ELi2EEEESE_Li2ELi16ELi16ELb0ELi1ESD_SE_SE_Li2ELi8ELi8ELb0ELi1ELi1ELi1ENSC_IJLi1ELi32ELi1ELi8EEEELi4ELNS_13LoopSchedulerE0ELNS_15PipelineVersionE0EaaEELb1EEEvNT_8ArgumentE, .Lfunc_end1-_ZN2ck27kernel_gemm_xdl_cshuffle_v1INS_43GridwiseGemm_k0mk1_k0nk1_mn_xdl_cshuffle_v1INS_13tensor_layout4gemm8RowMajorENS3_11ColumnMajorES4_aaiaaNS_16tensor_operation12element_wise11PassThroughES8_S8_LNS6_6device18GemmSpecializationE0ELNS_25InMemoryDataOperationEnumE0ELi1ELi256ELi256ELi128ELi64ELi16ELi16ELi16ELi16ELi8ELi4ENS_8SequenceIJLi4ELi64ELi1EEEENSC_IJLi1ELi0ELi2EEEESE_Li2ELi16ELi16ELb0ELi1ESD_SE_SE_Li2ELi8ELi8ELb0ELi1ELi1ELi1ENSC_IJLi1ELi32ELi1ELi8EEEELi4ELNS_13LoopSchedulerE0ELNS_15PipelineVersionE0EaaEELb1EEEvNT_8ArgumentE
                                        ; -- End function
	.section	.AMDGPU.csdata,"",@progbits
; Kernel info:
; codeLenInByte = 6440
; NumSgprs: 29
; NumVgprs: 206
; NumAgprs: 0
; TotalNumVgprs: 206
; ScratchSize: 0
; MemoryBound: 0
; FloatMode: 240
; IeeeMode: 1
; LDSByteSize: 24672 bytes/workgroup (compile time only)
; SGPRBlocks: 3
; VGPRBlocks: 25
; NumSGPRsForWavesPerEU: 29
; NumVGPRsForWavesPerEU: 206
; AccumOffset: 208
; Occupancy: 2
; WaveLimiterHint : 0
; COMPUTE_PGM_RSRC2:SCRATCH_EN: 0
; COMPUTE_PGM_RSRC2:USER_SGPR: 6
; COMPUTE_PGM_RSRC2:TRAP_HANDLER: 0
; COMPUTE_PGM_RSRC2:TGID_X_EN: 1
; COMPUTE_PGM_RSRC2:TGID_Y_EN: 0
; COMPUTE_PGM_RSRC2:TGID_Z_EN: 0
; COMPUTE_PGM_RSRC2:TIDIG_COMP_CNT: 0
; COMPUTE_PGM_RSRC3_GFX90A:ACCUM_OFFSET: 51
; COMPUTE_PGM_RSRC3_GFX90A:TG_SPLIT: 0
	.section	.text._ZN2ck27kernel_gemm_xdl_cshuffle_v1INS_43GridwiseGemm_k0mk1_k0nk1_mn_xdl_cshuffle_v1INS_13tensor_layout4gemm8RowMajorENS3_11ColumnMajorES4_aaiaaNS_16tensor_operation12element_wise11PassThroughES8_S8_LNS6_6device18GemmSpecializationE0ELNS_25InMemoryDataOperationEnumE0ELi1ELi256ELi256ELi128ELi64ELi16ELi16ELi16ELi16ELi8ELi4ENS_8SequenceIJLi4ELi64ELi1EEEENSC_IJLi1ELi0ELi2EEEESE_Li2ELi16ELi16ELb0ELi1ESD_SE_SE_Li2ELi8ELi8ELb0ELi1ELi1ELi1ENSC_IJLi1ELi32ELi1ELi8EEEELi4ELNS_13LoopSchedulerE0ELNS_15PipelineVersionE0EaaEELb0EEEvNT_8ArgumentE,"axG",@progbits,_ZN2ck27kernel_gemm_xdl_cshuffle_v1INS_43GridwiseGemm_k0mk1_k0nk1_mn_xdl_cshuffle_v1INS_13tensor_layout4gemm8RowMajorENS3_11ColumnMajorES4_aaiaaNS_16tensor_operation12element_wise11PassThroughES8_S8_LNS6_6device18GemmSpecializationE0ELNS_25InMemoryDataOperationEnumE0ELi1ELi256ELi256ELi128ELi64ELi16ELi16ELi16ELi16ELi8ELi4ENS_8SequenceIJLi4ELi64ELi1EEEENSC_IJLi1ELi0ELi2EEEESE_Li2ELi16ELi16ELb0ELi1ESD_SE_SE_Li2ELi8ELi8ELb0ELi1ELi1ELi1ENSC_IJLi1ELi32ELi1ELi8EEEELi4ELNS_13LoopSchedulerE0ELNS_15PipelineVersionE0EaaEELb0EEEvNT_8ArgumentE,comdat
	.protected	_ZN2ck27kernel_gemm_xdl_cshuffle_v1INS_43GridwiseGemm_k0mk1_k0nk1_mn_xdl_cshuffle_v1INS_13tensor_layout4gemm8RowMajorENS3_11ColumnMajorES4_aaiaaNS_16tensor_operation12element_wise11PassThroughES8_S8_LNS6_6device18GemmSpecializationE0ELNS_25InMemoryDataOperationEnumE0ELi1ELi256ELi256ELi128ELi64ELi16ELi16ELi16ELi16ELi8ELi4ENS_8SequenceIJLi4ELi64ELi1EEEENSC_IJLi1ELi0ELi2EEEESE_Li2ELi16ELi16ELb0ELi1ESD_SE_SE_Li2ELi8ELi8ELb0ELi1ELi1ELi1ENSC_IJLi1ELi32ELi1ELi8EEEELi4ELNS_13LoopSchedulerE0ELNS_15PipelineVersionE0EaaEELb0EEEvNT_8ArgumentE ; -- Begin function _ZN2ck27kernel_gemm_xdl_cshuffle_v1INS_43GridwiseGemm_k0mk1_k0nk1_mn_xdl_cshuffle_v1INS_13tensor_layout4gemm8RowMajorENS3_11ColumnMajorES4_aaiaaNS_16tensor_operation12element_wise11PassThroughES8_S8_LNS6_6device18GemmSpecializationE0ELNS_25InMemoryDataOperationEnumE0ELi1ELi256ELi256ELi128ELi64ELi16ELi16ELi16ELi16ELi8ELi4ENS_8SequenceIJLi4ELi64ELi1EEEENSC_IJLi1ELi0ELi2EEEESE_Li2ELi16ELi16ELb0ELi1ESD_SE_SE_Li2ELi8ELi8ELb0ELi1ELi1ELi1ENSC_IJLi1ELi32ELi1ELi8EEEELi4ELNS_13LoopSchedulerE0ELNS_15PipelineVersionE0EaaEELb0EEEvNT_8ArgumentE
	.globl	_ZN2ck27kernel_gemm_xdl_cshuffle_v1INS_43GridwiseGemm_k0mk1_k0nk1_mn_xdl_cshuffle_v1INS_13tensor_layout4gemm8RowMajorENS3_11ColumnMajorES4_aaiaaNS_16tensor_operation12element_wise11PassThroughES8_S8_LNS6_6device18GemmSpecializationE0ELNS_25InMemoryDataOperationEnumE0ELi1ELi256ELi256ELi128ELi64ELi16ELi16ELi16ELi16ELi8ELi4ENS_8SequenceIJLi4ELi64ELi1EEEENSC_IJLi1ELi0ELi2EEEESE_Li2ELi16ELi16ELb0ELi1ESD_SE_SE_Li2ELi8ELi8ELb0ELi1ELi1ELi1ENSC_IJLi1ELi32ELi1ELi8EEEELi4ELNS_13LoopSchedulerE0ELNS_15PipelineVersionE0EaaEELb0EEEvNT_8ArgumentE
	.p2align	8
	.type	_ZN2ck27kernel_gemm_xdl_cshuffle_v1INS_43GridwiseGemm_k0mk1_k0nk1_mn_xdl_cshuffle_v1INS_13tensor_layout4gemm8RowMajorENS3_11ColumnMajorES4_aaiaaNS_16tensor_operation12element_wise11PassThroughES8_S8_LNS6_6device18GemmSpecializationE0ELNS_25InMemoryDataOperationEnumE0ELi1ELi256ELi256ELi128ELi64ELi16ELi16ELi16ELi16ELi8ELi4ENS_8SequenceIJLi4ELi64ELi1EEEENSC_IJLi1ELi0ELi2EEEESE_Li2ELi16ELi16ELb0ELi1ESD_SE_SE_Li2ELi8ELi8ELb0ELi1ELi1ELi1ENSC_IJLi1ELi32ELi1ELi8EEEELi4ELNS_13LoopSchedulerE0ELNS_15PipelineVersionE0EaaEELb0EEEvNT_8ArgumentE,@function
_ZN2ck27kernel_gemm_xdl_cshuffle_v1INS_43GridwiseGemm_k0mk1_k0nk1_mn_xdl_cshuffle_v1INS_13tensor_layout4gemm8RowMajorENS3_11ColumnMajorES4_aaiaaNS_16tensor_operation12element_wise11PassThroughES8_S8_LNS6_6device18GemmSpecializationE0ELNS_25InMemoryDataOperationEnumE0ELi1ELi256ELi256ELi128ELi64ELi16ELi16ELi16ELi16ELi8ELi4ENS_8SequenceIJLi4ELi64ELi1EEEENSC_IJLi1ELi0ELi2EEEESE_Li2ELi16ELi16ELb0ELi1ESD_SE_SE_Li2ELi8ELi8ELb0ELi1ELi1ELi1ENSC_IJLi1ELi32ELi1ELi8EEEELi4ELNS_13LoopSchedulerE0ELNS_15PipelineVersionE0EaaEELb0EEEvNT_8ArgumentE: ; @_ZN2ck27kernel_gemm_xdl_cshuffle_v1INS_43GridwiseGemm_k0mk1_k0nk1_mn_xdl_cshuffle_v1INS_13tensor_layout4gemm8RowMajorENS3_11ColumnMajorES4_aaiaaNS_16tensor_operation12element_wise11PassThroughES8_S8_LNS6_6device18GemmSpecializationE0ELNS_25InMemoryDataOperationEnumE0ELi1ELi256ELi256ELi128ELi64ELi16ELi16ELi16ELi16ELi8ELi4ENS_8SequenceIJLi4ELi64ELi1EEEENSC_IJLi1ELi0ELi2EEEESE_Li2ELi16ELi16ELb0ELi1ESD_SE_SE_Li2ELi8ELi8ELb0ELi1ELi1ELi1ENSC_IJLi1ELi32ELi1ELi8EEEELi4ELNS_13LoopSchedulerE0ELNS_15PipelineVersionE0EaaEELb0EEEvNT_8ArgumentE
; %bb.0:
	s_load_dwordx4 s[8:11], s[4:5], 0x10
	s_load_dwordx2 s[16:17], s[4:5], 0x20
	s_add_u32 s0, 0, 0
	v_and_b32_e32 v28, 3, v0
	v_lshlrev_b32_e32 v2, 4, v28
	s_waitcnt lgkmcnt(0)
	s_addc_u32 s2, s8, -1
	s_add_u32 s0, 0, 0
	s_addc_u32 s3, s9, -1
	s_add_i32 s1, s8, 0xff
	s_ashr_i32 s7, s1, 31
	s_lshr_b32 s7, s7, 24
	s_add_i32 s0, s9, 0x7f
	s_add_i32 s1, s1, s7
	s_ashr_i32 s7, s1, 8
	s_ashr_i32 s1, s0, 31
	s_lshr_b32 s1, s1, 25
	s_add_i32 s0, s0, s1
	s_ashr_i32 s8, s0, 7
	s_mul_i32 s0, s8, s7
	s_abs_i32 s0, s0
	v_cvt_f32_u32_e32 v1, s0
	s_ashr_i32 s18, s6, 31
	s_abs_i32 s1, s6
	s_sub_i32 s6, 0, s0
	v_rcp_iflag_f32_e32 v1, v1
	s_mul_i32 s21, s3, s16
	s_mul_i32 s20, s2, s11
	v_lshrrev_b32_e32 v114, 3, v0
	v_mul_f32_e32 v1, 0x4f7ffffe, v1
	v_cvt_u32_f32_e32 v1, v1
	v_mul_u32_u24_e32 v31, 0x810, v28
	v_lshlrev_b32_e32 v115, 2, v0
	v_readfirstlane_b32 s12, v1
	s_mul_i32 s6, s6, s12
	s_mul_hi_u32 s6, s12, s6
	s_add_i32 s12, s12, s6
	s_mul_hi_u32 s6, s1, s12
	s_mul_i32 s6, s6, s0
	s_sub_i32 s1, s1, s6
	s_sub_i32 s6, s1, s0
	s_cmp_ge_u32 s1, s0
	s_cselect_b32 s1, s6, s1
	s_sub_i32 s6, s1, s0
	s_cmp_ge_u32 s1, s0
	s_cselect_b32 s6, s6, s1
	s_abs_i32 s19, s8
	v_cvt_f32_u32_e32 v1, s19
	s_xor_b32 s3, s6, s18
	s_sub_i32 s3, s3, s18
	s_sub_i32 s6, 0, s19
	v_rcp_iflag_f32_e32 v1, v1
	s_load_dwordx4 s[12:15], s[4:5], 0x48
	s_load_dwordx2 s[0:1], s[4:5], 0x58
	s_abs_i32 s5, s3
	s_xor_b32 s4, s3, s8
	v_mul_f32_e32 v1, 0x4f7ffffe, v1
	v_cvt_u32_f32_e32 v1, v1
	s_ashr_i32 s4, s4, 31
	v_readfirstlane_b32 s18, v1
	s_mul_i32 s6, s6, s18
	s_mul_hi_u32 s6, s18, s6
	s_add_i32 s18, s18, s6
	s_mul_hi_u32 s6, s5, s18
	s_mul_i32 s18, s6, s19
	s_sub_i32 s5, s5, s18
	s_add_i32 s18, s6, 1
	s_sub_i32 s22, s5, s19
	s_cmp_ge_u32 s5, s19
	s_cselect_b32 s6, s18, s6
	s_cselect_b32 s5, s22, s5
	s_add_i32 s18, s6, 1
	s_cmp_ge_u32 s5, s19
	s_cselect_b32 s5, s18, s6
	s_xor_b32 s5, s5, s4
	s_sub_i32 s4, s5, s4
	s_lshr_b32 s5, s7, 29
	s_add_i32 s5, s7, s5
	s_and_b32 s5, s5, -8
	s_sub_i32 s6, s7, s5
	s_cmp_ge_i32 s4, s5
	s_cselect_b32 s5, s6, 8
	s_abs_i32 s7, s5
	v_cvt_f32_u32_e32 v1, s7
	s_mul_i32 s6, s4, s8
	s_sub_i32 s3, s3, s6
	s_ashr_i32 s6, s4, 31
	v_rcp_iflag_f32_e32 v1, v1
	s_lshr_b32 s6, s6, 29
	s_add_i32 s6, s4, s6
	s_and_b32 s6, s6, -8
	v_mul_f32_e32 v1, 0x4f7ffffe, v1
	v_cvt_u32_f32_e32 v1, v1
	s_sub_i32 s6, s4, s6
	s_sub_i32 s19, 0, s7
	s_mul_i32 s8, s6, s8
	v_readfirstlane_b32 s22, v1
	s_mul_i32 s19, s19, s22
	s_add_i32 s8, s8, s3
	s_mul_hi_u32 s19, s22, s19
	s_abs_i32 s18, s8
	s_add_i32 s22, s22, s19
	s_mul_hi_u32 s19, s18, s22
	s_mul_i32 s22, s19, s7
	s_xor_b32 s3, s8, s5
	s_sub_i32 s18, s18, s22
	s_ashr_i32 s3, s3, 31
	s_add_i32 s22, s19, 1
	s_sub_i32 s23, s18, s7
	s_cmp_ge_u32 s18, s7
	s_cselect_b32 s19, s22, s19
	s_cselect_b32 s18, s23, s18
	s_add_i32 s22, s19, 1
	s_cmp_ge_u32 s18, s7
	s_cselect_b32 s7, s22, s19
	s_xor_b32 s7, s7, s3
	s_sub_i32 s7, s7, s3
	s_mul_i32 s3, s7, s5
	s_sub_i32 s3, s8, s3
	s_add_i32 s3, s3, s4
	s_sub_i32 s3, s3, s6
	s_lshl_b32 s3, s3, 8
	v_and_b32_e32 v1, 0xfc, v0
	v_add_u32_e32 v3, s3, v1
	v_mad_u64_u32 v[10:11], s[4:5], v3, s11, v[2:3]
	v_lshrrev_b32_e32 v3, 1, v0
	s_lshl_b32 s8, s7, 7
	v_and_b32_e32 v29, 0x7e, v3
	v_add_u32_e32 v3, s8, v29
	v_mad_u64_u32 v[26:27], s[4:5], v3, s16, v[2:3]
	v_add_u32_e32 v11, s11, v10
	s_add_i32 s6, s10, s20
	s_mov_b32 s7, 0x20000
	s_waitcnt lgkmcnt(0)
	s_mov_b32 s4, s12
	s_mov_b32 s5, s13
	v_add_u32_e32 v18, s11, v11
	v_add_u32_e32 v27, s16, v26
	buffer_load_dwordx4 v[2:5], v10, s[4:7], 0 offen
	buffer_load_dwordx4 v[6:9], v11, s[4:7], 0 offen
	v_add_u32_e32 v19, s11, v18
	buffer_load_dwordx4 v[10:13], v18, s[4:7], 0 offen
	buffer_load_dwordx4 v[14:17], v19, s[4:7], 0 offen
	s_add_i32 s6, s10, s21
	s_mov_b32 s4, s14
	s_mov_b32 s5, s15
	v_add_u32_e32 v30, 8, v27
	buffer_load_dwordx2 v[20:21], v30, s[4:7], 0 offen
	buffer_load_dwordx4 v[22:25], v26, s[4:7], 0 offen
	buffer_load_dwordx2 v[18:19], v27, s[4:7], 0 offen
	v_and_b32_e32 v26, 63, v0
	v_and_b32_e32 v27, 48, v0
	v_bfe_u32 v30, v0, 4, 2
	v_sub_u32_e32 v26, v26, v27
	v_and_b32_e32 v27, 16, v114
	s_movk_i32 s4, 0x1010
	v_lshlrev_b32_e32 v1, 4, v1
	v_mul_u32_u24_e32 v32, 0x1010, v30
	v_add_u32_e32 v27, v26, v27
	v_mad_u32_u24 v1, v28, s4, v1
	v_lshl_add_u32 v116, v27, 4, v32
	v_lshl_add_u32 v29, v29, 4, v31
	v_mul_u32_u24_e32 v30, 0x810, v30
	s_mul_i32 s4, s2, s17
	s_movk_i32 s2, 0x180
	s_waitcnt vmcnt(6)
	ds_write_b128 v1, v[2:5]
	s_waitcnt vmcnt(5)
	ds_write_b128 v1, v[6:9] offset:16
	s_waitcnt vmcnt(4)
	ds_write_b128 v1, v[10:13] offset:32
	;; [unrolled: 2-line block ×5, first 2 shown]
	s_waitcnt lgkmcnt(0)
	s_barrier
	ds_read_b128 v[18:21], v116
	v_and_b32_e32 v1, 0x100, v115
	v_lshlrev_b32_e32 v2, 4, v26
	v_add3_u32 v1, v2, v1, v30
	ds_read_b128 v[2:5], v1 offset:16432
	ds_read_b128 v[6:9], v1 offset:16944
	;; [unrolled: 1-line block ×5, first 2 shown]
	s_waitcnt lgkmcnt(4)
	v_mfma_i32_16x16x16i8 v[26:29], v18, v2, 0
	v_and_b32_e32 v1, 15, v0
	s_waitcnt lgkmcnt(3)
	v_mfma_i32_16x16x16i8 v[30:33], v18, v6, 0
	s_waitcnt lgkmcnt(1)
	v_mfma_i32_16x16x16i8 v[34:37], v18, v10, 0
	;; [unrolled: 2-line block ×3, first 2 shown]
	v_mfma_i32_16x16x16i8 v[26:29], v19, v3, v[26:29]
	v_mfma_i32_16x16x16i8 v[30:33], v19, v7, v[30:33]
	;; [unrolled: 1-line block ×28, first 2 shown]
	s_nop 6
	ds_read_b128 v[18:21], v116 offset:1024
	ds_read_b128 v[22:25], v116 offset:1536
	ds_read_b128 v[50:53], v116 offset:2048
	ds_read_b128 v[106:109], v116 offset:2560
	s_waitcnt lgkmcnt(3)
	v_mfma_i32_16x16x16i8 v[26:29], v18, v2, 0
	v_mfma_i32_16x16x16i8 v[26:29], v19, v3, v[26:29]
	;; [unrolled: 1-line block ×16, first 2 shown]
	s_waitcnt lgkmcnt(2)
	v_mfma_i32_16x16x16i8 v[18:21], v22, v2, 0
	v_mfma_i32_16x16x16i8 v[18:21], v23, v3, v[18:21]
	;; [unrolled: 1-line block ×16, first 2 shown]
	s_waitcnt lgkmcnt(1)
	v_mfma_i32_16x16x16i8 v[18:21], v50, v2, 0
	v_mfma_i32_16x16x16i8 v[18:21], v51, v3, v[18:21]
	;; [unrolled: 1-line block ×12, first 2 shown]
	v_lshrrev_b32_e32 v50, 2, v0
	v_lshlrev_b32_e32 v0, 3, v0
	v_and_b32_e32 v50, 16, v50
	v_and_or_b32 v0, v0, s2, v1
	v_or_b32_e32 v1, s3, v114
	v_mfma_i32_16x16x16i8 v[30:33], v53, v13, v[18:21]
	ds_read_b128 v[22:25], v116 offset:3072
	s_nop 5
	ds_read_b128 v[18:21], v116 offset:3584
	v_and_b32_e32 v116, 0x200, v115
	v_or3_b32 v116, v0, v116, v50
	v_and_b32_e32 v0, 28, v115
	v_lshl_or_b32 v115, v114, 5, v0
	s_waitcnt lgkmcnt(0)
	s_barrier
	ds_write_b8 v116, v70
	ds_write_b8 v116, v71 offset:32
	ds_write_b8 v116, v72 offset:64
	;; [unrolled: 1-line block ×3, first 2 shown]
	s_waitcnt lgkmcnt(0)
	s_barrier
	ds_read_b32 v50, v115
	v_or_b32_e32 v0, s8, v0
	v_mad_u64_u32 v[0:1], s[2:3], v1, s17, v[0:1]
	s_add_i32 s2, s9, s4
	s_mov_b32 s3, s7
	s_lshl_b32 s4, s17, 5
	v_mfma_i32_16x16x16i8 v[110:113], v51, v15, v[110:113]
	s_waitcnt lgkmcnt(0)
	buffer_store_dword v50, v0, s[0:3], 0 offen
	s_waitcnt lgkmcnt(0)
	s_barrier
	ds_write_b8 v116, v74
	ds_write_b8 v116, v75 offset:32
	ds_write_b8 v116, v76 offset:64
	ds_write_b8 v116, v77 offset:96
	s_waitcnt lgkmcnt(0)
	s_barrier
	ds_read_b32 v1, v115
	v_mfma_i32_16x16x16i8 v[110:113], v52, v16, v[110:113]
	s_waitcnt lgkmcnt(0)
	buffer_store_dword v1, v0, s[0:3], 0 offen offset:32
	s_waitcnt lgkmcnt(0)
	s_barrier
	ds_write_b8 v116, v78
	ds_write_b8 v116, v79 offset:32
	ds_write_b8 v116, v80 offset:64
	ds_write_b8 v116, v81 offset:96
	s_waitcnt lgkmcnt(0)
	s_barrier
	ds_read_b32 v1, v115
	v_mfma_i32_16x16x16i8 v[74:77], v106, v6, 0
	s_waitcnt lgkmcnt(0)
	buffer_store_dword v1, v0, s[0:3], 0 offen offset:64
	;; [unrolled: 12-line block ×3, first 2 shown]
	s_waitcnt lgkmcnt(0)
	s_barrier
	ds_write_b8 v116, v94
	ds_write_b8 v116, v95 offset:32
	ds_write_b8 v116, v96 offset:64
	;; [unrolled: 1-line block ×3, first 2 shown]
	s_waitcnt lgkmcnt(0)
	s_barrier
	ds_read_b32 v1, v115
	v_add_u32_e32 v0, s4, v0
	v_add_u32_e32 v78, 0x60, v0
	;; [unrolled: 1-line block ×3, first 2 shown]
	v_mfma_i32_16x16x16i8 v[50:53], v106, v2, 0
	s_waitcnt lgkmcnt(0)
	buffer_store_dword v1, v78, s[0:3], 0 offen
	s_waitcnt lgkmcnt(0)
	s_barrier
	ds_write_b8 v116, v90
	ds_write_b8 v116, v91 offset:32
	ds_write_b8 v116, v92 offset:64
	;; [unrolled: 1-line block ×3, first 2 shown]
	s_waitcnt lgkmcnt(0)
	s_barrier
	ds_read_b32 v1, v115
	v_add_u32_e32 v78, 64, v0
	v_mfma_i32_16x16x16i8 v[74:77], v107, v7, v[74:77]
	s_waitcnt lgkmcnt(0)
	buffer_store_dword v1, v78, s[0:3], 0 offen
	s_waitcnt lgkmcnt(0)
	s_barrier
	ds_write_b8 v116, v86
	ds_write_b8 v116, v87 offset:32
	ds_write_b8 v116, v88 offset:64
	ds_write_b8 v116, v89 offset:96
	s_waitcnt lgkmcnt(0)
	s_barrier
	ds_read_b32 v1, v115
	v_mfma_i32_16x16x16i8 v[78:81], v106, v10, 0
	s_waitcnt lgkmcnt(0)
	buffer_store_dword v1, v82, s[0:3], 0 offen
	s_waitcnt lgkmcnt(0)
	s_barrier
	ds_write_b8 v116, v62
	ds_write_b8 v116, v63 offset:32
	ds_write_b8 v116, v64 offset:64
	ds_write_b8 v116, v65 offset:96
	s_waitcnt lgkmcnt(0)
	s_barrier
	ds_read_b32 v1, v115
	;; [unrolled: 12-line block ×3, first 2 shown]
	v_add_u32_e32 v0, s4, v0
	v_mfma_i32_16x16x16i8 v[78:81], v108, v12, v[78:81]
	s_waitcnt lgkmcnt(0)
	buffer_store_dword v1, v0, s[0:3], 0 offen
	s_waitcnt lgkmcnt(0)
	s_barrier
	ds_write_b8 v116, v102
	ds_write_b8 v116, v103 offset:32
	ds_write_b8 v116, v104 offset:64
	ds_write_b8 v116, v105 offset:96
	s_waitcnt lgkmcnt(0)
	s_barrier
	ds_read_b32 v1, v115
	v_mfma_i32_16x16x16i8 v[62:65], v109, v13, v[78:81]
	s_waitcnt lgkmcnt(0)
	buffer_store_dword v1, v0, s[0:3], 0 offen offset:32
	s_waitcnt lgkmcnt(0)
	s_barrier
	ds_write_b8 v116, v66
	ds_write_b8 v116, v67 offset:32
	ds_write_b8 v116, v68 offset:64
	ds_write_b8 v116, v69 offset:96
	s_waitcnt lgkmcnt(0)
	s_barrier
	ds_read_b32 v1, v115
	v_mfma_i32_16x16x16i8 v[78:81], v106, v14, 0
	s_waitcnt lgkmcnt(0)
	buffer_store_dword v1, v0, s[0:3], 0 offen offset:64
	;; [unrolled: 12-line block ×3, first 2 shown]
	s_waitcnt lgkmcnt(0)
	s_barrier
	ds_write_b8 v116, v58
	ds_write_b8 v116, v59 offset:32
	ds_write_b8 v116, v60 offset:64
	;; [unrolled: 1-line block ×3, first 2 shown]
	s_waitcnt lgkmcnt(0)
	s_barrier
	ds_read_b32 v1, v115
	v_add_u32_e32 v0, s4, v0
	v_add_u32_e32 v58, 0x60, v0
	v_mfma_i32_16x16x16i8 v[54:57], v22, v2, 0
	s_waitcnt lgkmcnt(0)
	buffer_store_dword v1, v58, s[0:3], 0 offen
	s_waitcnt lgkmcnt(0)
	s_barrier
	ds_write_b8 v116, v46
	ds_write_b8 v116, v47 offset:32
	ds_write_b8 v116, v48 offset:64
	;; [unrolled: 1-line block ×3, first 2 shown]
	s_waitcnt lgkmcnt(0)
	s_barrier
	ds_read_b32 v1, v115
	v_add_u32_e32 v46, 64, v0
	v_mfma_i32_16x16x16i8 v[78:81], v108, v16, v[78:81]
	s_waitcnt lgkmcnt(0)
	buffer_store_dword v1, v46, s[0:3], 0 offen
	s_waitcnt lgkmcnt(0)
	s_barrier
	ds_write_b8 v116, v38
	ds_write_b8 v116, v39 offset:32
	ds_write_b8 v116, v40 offset:64
	;; [unrolled: 1-line block ×3, first 2 shown]
	s_waitcnt lgkmcnt(0)
	v_mfma_i32_16x16x16i8 v[46:49], v22, v6, 0
	s_barrier
	ds_read_b32 v1, v115
	v_mfma_i32_16x16x16i8 v[38:41], v23, v7, v[46:49]
	v_mfma_i32_16x16x16i8 v[38:41], v24, v8, v[38:41]
	s_nop 6
	v_add_u32_e32 v46, 32, v0
	s_waitcnt lgkmcnt(0)
	buffer_store_dword v1, v46, s[0:3], 0 offen
	s_waitcnt lgkmcnt(0)
	s_barrier
	ds_write_b8 v116, v26
	ds_write_b8 v116, v27 offset:32
	ds_write_b8 v116, v28 offset:64
	;; [unrolled: 1-line block ×3, first 2 shown]
	s_waitcnt lgkmcnt(0)
	v_mfma_i32_16x16x16i8 v[26:29], v25, v9, v[38:41]
	s_barrier
	ds_read_b32 v1, v115
	s_waitcnt lgkmcnt(0)
	buffer_store_dword v1, v0, s[0:3], 0 offen
	v_mfma_i32_16x16x16i8 v[38:41], v22, v10, 0
	s_waitcnt lgkmcnt(0)
	s_barrier
	ds_write_b8 v116, v42
	ds_write_b8 v116, v43 offset:32
	ds_write_b8 v116, v44 offset:64
	;; [unrolled: 1-line block ×3, first 2 shown]
	s_waitcnt lgkmcnt(0)
	s_barrier
	ds_read_b32 v1, v115
	v_add_u32_e32 v0, s4, v0
	v_mfma_i32_16x16x16i8 v[38:41], v23, v11, v[38:41]
	v_add_u32_e32 v42, s4, v0
	s_waitcnt lgkmcnt(0)
	buffer_store_dword v1, v0, s[0:3], 0 offen
	s_waitcnt lgkmcnt(0)
	s_barrier
	ds_write_b8 v116, v34
	ds_write_b8 v116, v35 offset:32
	ds_write_b8 v116, v36 offset:64
	;; [unrolled: 1-line block ×3, first 2 shown]
	v_mfma_i32_16x16x16i8 v[34:37], v24, v12, v[38:41]
	s_waitcnt lgkmcnt(0)
	s_barrier
	ds_read_b32 v1, v115
	s_waitcnt lgkmcnt(0)
	buffer_store_dword v1, v0, s[0:3], 0 offen offset:32
	s_waitcnt lgkmcnt(0)
	s_barrier
	ds_write_b8 v116, v30
	ds_write_b8 v116, v31 offset:32
	ds_write_b8 v116, v32 offset:64
	;; [unrolled: 1-line block ×3, first 2 shown]
	v_mfma_i32_16x16x16i8 v[30:33], v25, v13, v[34:37]
	s_waitcnt lgkmcnt(0)
	s_barrier
	ds_read_b32 v1, v115
	s_waitcnt lgkmcnt(0)
	buffer_store_dword v1, v0, s[0:3], 0 offen offset:64
	v_mfma_i32_16x16x16i8 v[34:37], v22, v14, 0
	s_waitcnt lgkmcnt(0)
	s_barrier
	ds_write_b8 v116, v70
	ds_write_b8 v116, v71 offset:32
	ds_write_b8 v116, v72 offset:64
	;; [unrolled: 1-line block ×3, first 2 shown]
	s_waitcnt lgkmcnt(0)
	s_barrier
	ds_read_b32 v1, v115
	v_mfma_i32_16x16x16i8 v[54:57], v23, v3, v[54:57]
	s_waitcnt lgkmcnt(0)
	buffer_store_dword v1, v0, s[0:3], 0 offen offset:96
	s_waitcnt lgkmcnt(0)
	s_barrier
	v_add_u32_e32 v0, 0x60, v42
	v_mfma_i32_16x16x16i8 v[34:37], v23, v15, v[34:37]
	v_mfma_i32_16x16x16i8 v[50:53], v107, v3, v[50:53]
	;; [unrolled: 1-line block ×3, first 2 shown]
	s_nop 7
	s_nop 2
	ds_write_b8 v116, v66
	ds_write_b8 v116, v67 offset:32
	ds_write_b8 v116, v68 offset:64
	;; [unrolled: 1-line block ×3, first 2 shown]
	v_mfma_i32_16x16x16i8 v[74:77], v108, v8, v[74:77]
	s_waitcnt lgkmcnt(0)
	s_barrier
	ds_read_b32 v1, v115
	s_waitcnt lgkmcnt(0)
	buffer_store_dword v1, v0, s[0:3], 0 offen
	v_mfma_i32_16x16x16i8 v[54:57], v24, v4, v[54:57]
	s_waitcnt lgkmcnt(0)
	s_barrier
	ds_write_b8 v116, v62
	ds_write_b8 v116, v63 offset:32
	ds_write_b8 v116, v64 offset:64
	;; [unrolled: 1-line block ×3, first 2 shown]
	s_waitcnt lgkmcnt(0)
	s_barrier
	ds_read_b32 v0, v115
	v_mfma_i32_16x16x16i8 v[34:37], v24, v16, v[34:37]
	v_add_u32_e32 v1, 64, v42
	s_waitcnt lgkmcnt(0)
	buffer_store_dword v0, v1, s[0:3], 0 offen
	s_waitcnt lgkmcnt(0)
	s_barrier
	v_mfma_i32_16x16x16i8 v[50:53], v108, v4, v[50:53]
	v_mfma_i32_16x16x16i8 v[74:77], v109, v9, v[74:77]
	s_nop 7
	s_nop 2
	ds_write_b8 v116, v74
	ds_write_b8 v116, v75 offset:32
	ds_write_b8 v116, v76 offset:64
	;; [unrolled: 1-line block ×3, first 2 shown]
	v_mfma_i32_16x16x16i8 v[54:57], v25, v5, v[54:57]
	s_waitcnt lgkmcnt(0)
	s_barrier
	v_mfma_i32_16x16x16i8 v[22:25], v25, v17, v[34:37]
	v_mfma_i32_16x16x16i8 v[34:37], v18, v2, 0
	;; [unrolled: 1-line block ×4, first 2 shown]
	s_nop 7
	s_nop 0
	ds_read_b32 v34, v115
	v_add_u32_e32 v35, 32, v42
	v_mfma_i32_16x16x16i8 v[38:41], v18, v10, 0
	s_waitcnt lgkmcnt(0)
	buffer_store_dword v34, v35, s[0:3], 0 offen
	s_waitcnt lgkmcnt(0)
	s_barrier
	ds_write_b8 v116, v50
	ds_write_b8 v116, v51 offset:32
	ds_write_b8 v116, v52 offset:64
	;; [unrolled: 1-line block ×3, first 2 shown]
	v_mfma_i32_16x16x16i8 v[34:37], v18, v6, 0
	s_waitcnt lgkmcnt(0)
	s_barrier
	ds_read_b32 v6, v115
	s_waitcnt lgkmcnt(0)
	buffer_store_dword v6, v42, s[0:3], 0 offen
	s_waitcnt lgkmcnt(0)
	s_barrier
	ds_write_b8 v116, v54
	ds_write_b8 v116, v55 offset:32
	ds_write_b8 v116, v56 offset:64
	;; [unrolled: 1-line block ×3, first 2 shown]
	s_waitcnt lgkmcnt(0)
	s_barrier
	ds_read_b32 v6, v115
	v_mfma_i32_16x16x16i8 v[34:37], v19, v7, v[34:37]
	v_add_u32_e32 v7, s4, v42
	s_waitcnt lgkmcnt(0)
	buffer_store_dword v6, v7, s[0:3], 0 offen
	s_waitcnt lgkmcnt(0)
	s_barrier
	ds_write_b8 v116, v26
	ds_write_b8 v116, v27 offset:32
	ds_write_b8 v116, v28 offset:64
	;; [unrolled: 1-line block ×3, first 2 shown]
	v_mfma_i32_16x16x16i8 v[26:29], v18, v14, 0
	s_waitcnt lgkmcnt(0)
	s_barrier
	ds_read_b32 v6, v115
	v_add_u32_e32 v18, s4, v7
	s_waitcnt lgkmcnt(0)
	buffer_store_dword v6, v7, s[0:3], 0 offen offset:32
	v_mfma_i32_16x16x16i8 v[26:29], v19, v15, v[26:29]
	s_waitcnt lgkmcnt(0)
	s_barrier
	ds_write_b8 v116, v30
	ds_write_b8 v116, v31 offset:32
	ds_write_b8 v116, v32 offset:64
	;; [unrolled: 1-line block ×3, first 2 shown]
	s_waitcnt lgkmcnt(0)
	s_barrier
	ds_read_b32 v6, v115
	s_waitcnt lgkmcnt(0)
	buffer_store_dword v6, v7, s[0:3], 0 offen offset:64
	v_mfma_i32_16x16x16i8 v[26:29], v20, v16, v[26:29]
	s_waitcnt lgkmcnt(0)
	s_barrier
	ds_write_b8 v116, v22
	ds_write_b8 v116, v23 offset:32
	ds_write_b8 v116, v24 offset:64
	;; [unrolled: 1-line block ×3, first 2 shown]
	s_waitcnt lgkmcnt(0)
	s_barrier
	ds_read_b32 v6, v115
	v_mfma_i32_16x16x16i8 v[38:41], v19, v11, v[38:41]
	s_waitcnt lgkmcnt(0)
	buffer_store_dword v6, v7, s[0:3], 0 offen offset:96
	s_waitcnt lgkmcnt(0)
	s_barrier
	v_add_u32_e32 v7, 0x60, v18
	v_mfma_i32_16x16x16i8 v[14:17], v21, v17, v[26:29]
	s_nop 7
	s_nop 2
	ds_write_b8 v116, v14
	ds_write_b8 v116, v15 offset:32
	ds_write_b8 v116, v16 offset:64
	;; [unrolled: 1-line block ×3, first 2 shown]
	v_mfma_i32_16x16x16i8 v[14:17], v20, v12, v[38:41]
	s_waitcnt lgkmcnt(0)
	s_barrier
	ds_read_b32 v6, v115
	s_waitcnt lgkmcnt(0)
	buffer_store_dword v6, v7, s[0:3], 0 offen
	v_mfma_i32_16x16x16i8 v[10:13], v21, v13, v[14:17]
	s_waitcnt lgkmcnt(0)
	s_barrier
	s_nop 7
	s_nop 0
	ds_write_b8 v116, v10
	ds_write_b8 v116, v11 offset:32
	ds_write_b8 v116, v12 offset:64
	;; [unrolled: 1-line block ×3, first 2 shown]
	v_mfma_i32_16x16x16i8 v[10:13], v20, v8, v[34:37]
	s_waitcnt lgkmcnt(0)
	s_barrier
	ds_read_b32 v6, v115
	v_add_u32_e32 v7, 64, v18
	s_waitcnt lgkmcnt(0)
	buffer_store_dword v6, v7, s[0:3], 0 offen
	v_mfma_i32_16x16x16i8 v[0:3], v20, v4, v[0:3]
	s_waitcnt lgkmcnt(0)
	s_barrier
	v_mfma_i32_16x16x16i8 v[6:9], v21, v9, v[10:13]
	s_nop 7
	s_nop 2
	ds_write_b8 v116, v6
	ds_write_b8 v116, v7 offset:32
	ds_write_b8 v116, v8 offset:64
	;; [unrolled: 1-line block ×3, first 2 shown]
	v_mfma_i32_16x16x16i8 v[0:3], v21, v5, v[0:3]
	s_waitcnt lgkmcnt(0)
	s_barrier
	ds_read_b32 v4, v115
	v_add_u32_e32 v6, 32, v18
	s_waitcnt lgkmcnt(0)
	buffer_store_dword v4, v6, s[0:3], 0 offen
	s_waitcnt lgkmcnt(0)
	s_barrier
	s_nop 2
	ds_write_b8 v116, v0
	ds_write_b8 v116, v1 offset:32
	ds_write_b8 v116, v2 offset:64
	;; [unrolled: 1-line block ×3, first 2 shown]
	s_waitcnt lgkmcnt(0)
	s_barrier
	ds_read_b32 v0, v115
	s_waitcnt lgkmcnt(0)
	buffer_store_dword v0, v18, s[0:3], 0 offen
	s_endpgm
	.section	.rodata,"a",@progbits
	.p2align	6, 0x0
	.amdhsa_kernel _ZN2ck27kernel_gemm_xdl_cshuffle_v1INS_43GridwiseGemm_k0mk1_k0nk1_mn_xdl_cshuffle_v1INS_13tensor_layout4gemm8RowMajorENS3_11ColumnMajorES4_aaiaaNS_16tensor_operation12element_wise11PassThroughES8_S8_LNS6_6device18GemmSpecializationE0ELNS_25InMemoryDataOperationEnumE0ELi1ELi256ELi256ELi128ELi64ELi16ELi16ELi16ELi16ELi8ELi4ENS_8SequenceIJLi4ELi64ELi1EEEENSC_IJLi1ELi0ELi2EEEESE_Li2ELi16ELi16ELb0ELi1ESD_SE_SE_Li2ELi8ELi8ELb0ELi1ELi1ELi1ENSC_IJLi1ELi32ELi1ELi8EEEELi4ELNS_13LoopSchedulerE0ELNS_15PipelineVersionE0EaaEELb0EEEvNT_8ArgumentE
		.amdhsa_group_segment_fixed_size 24672
		.amdhsa_private_segment_fixed_size 0
		.amdhsa_kernarg_size 96
		.amdhsa_user_sgpr_count 6
		.amdhsa_user_sgpr_private_segment_buffer 1
		.amdhsa_user_sgpr_dispatch_ptr 0
		.amdhsa_user_sgpr_queue_ptr 0
		.amdhsa_user_sgpr_kernarg_segment_ptr 1
		.amdhsa_user_sgpr_dispatch_id 0
		.amdhsa_user_sgpr_flat_scratch_init 0
		.amdhsa_user_sgpr_kernarg_preload_length 0
		.amdhsa_user_sgpr_kernarg_preload_offset 0
		.amdhsa_user_sgpr_private_segment_size 0
		.amdhsa_uses_dynamic_stack 0
		.amdhsa_system_sgpr_private_segment_wavefront_offset 0
		.amdhsa_system_sgpr_workgroup_id_x 1
		.amdhsa_system_sgpr_workgroup_id_y 0
		.amdhsa_system_sgpr_workgroup_id_z 0
		.amdhsa_system_sgpr_workgroup_info 0
		.amdhsa_system_vgpr_workitem_id 0
		.amdhsa_next_free_vgpr 117
		.amdhsa_next_free_sgpr 24
		.amdhsa_accum_offset 120
		.amdhsa_reserve_vcc 0
		.amdhsa_reserve_flat_scratch 0
		.amdhsa_float_round_mode_32 0
		.amdhsa_float_round_mode_16_64 0
		.amdhsa_float_denorm_mode_32 3
		.amdhsa_float_denorm_mode_16_64 3
		.amdhsa_dx10_clamp 1
		.amdhsa_ieee_mode 1
		.amdhsa_fp16_overflow 0
		.amdhsa_tg_split 0
		.amdhsa_exception_fp_ieee_invalid_op 0
		.amdhsa_exception_fp_denorm_src 0
		.amdhsa_exception_fp_ieee_div_zero 0
		.amdhsa_exception_fp_ieee_overflow 0
		.amdhsa_exception_fp_ieee_underflow 0
		.amdhsa_exception_fp_ieee_inexact 0
		.amdhsa_exception_int_div_zero 0
	.end_amdhsa_kernel
	.section	.text._ZN2ck27kernel_gemm_xdl_cshuffle_v1INS_43GridwiseGemm_k0mk1_k0nk1_mn_xdl_cshuffle_v1INS_13tensor_layout4gemm8RowMajorENS3_11ColumnMajorES4_aaiaaNS_16tensor_operation12element_wise11PassThroughES8_S8_LNS6_6device18GemmSpecializationE0ELNS_25InMemoryDataOperationEnumE0ELi1ELi256ELi256ELi128ELi64ELi16ELi16ELi16ELi16ELi8ELi4ENS_8SequenceIJLi4ELi64ELi1EEEENSC_IJLi1ELi0ELi2EEEESE_Li2ELi16ELi16ELb0ELi1ESD_SE_SE_Li2ELi8ELi8ELb0ELi1ELi1ELi1ENSC_IJLi1ELi32ELi1ELi8EEEELi4ELNS_13LoopSchedulerE0ELNS_15PipelineVersionE0EaaEELb0EEEvNT_8ArgumentE,"axG",@progbits,_ZN2ck27kernel_gemm_xdl_cshuffle_v1INS_43GridwiseGemm_k0mk1_k0nk1_mn_xdl_cshuffle_v1INS_13tensor_layout4gemm8RowMajorENS3_11ColumnMajorES4_aaiaaNS_16tensor_operation12element_wise11PassThroughES8_S8_LNS6_6device18GemmSpecializationE0ELNS_25InMemoryDataOperationEnumE0ELi1ELi256ELi256ELi128ELi64ELi16ELi16ELi16ELi16ELi8ELi4ENS_8SequenceIJLi4ELi64ELi1EEEENSC_IJLi1ELi0ELi2EEEESE_Li2ELi16ELi16ELb0ELi1ESD_SE_SE_Li2ELi8ELi8ELb0ELi1ELi1ELi1ENSC_IJLi1ELi32ELi1ELi8EEEELi4ELNS_13LoopSchedulerE0ELNS_15PipelineVersionE0EaaEELb0EEEvNT_8ArgumentE,comdat
.Lfunc_end2:
	.size	_ZN2ck27kernel_gemm_xdl_cshuffle_v1INS_43GridwiseGemm_k0mk1_k0nk1_mn_xdl_cshuffle_v1INS_13tensor_layout4gemm8RowMajorENS3_11ColumnMajorES4_aaiaaNS_16tensor_operation12element_wise11PassThroughES8_S8_LNS6_6device18GemmSpecializationE0ELNS_25InMemoryDataOperationEnumE0ELi1ELi256ELi256ELi128ELi64ELi16ELi16ELi16ELi16ELi8ELi4ENS_8SequenceIJLi4ELi64ELi1EEEENSC_IJLi1ELi0ELi2EEEESE_Li2ELi16ELi16ELb0ELi1ESD_SE_SE_Li2ELi8ELi8ELb0ELi1ELi1ELi1ENSC_IJLi1ELi32ELi1ELi8EEEELi4ELNS_13LoopSchedulerE0ELNS_15PipelineVersionE0EaaEELb0EEEvNT_8ArgumentE, .Lfunc_end2-_ZN2ck27kernel_gemm_xdl_cshuffle_v1INS_43GridwiseGemm_k0mk1_k0nk1_mn_xdl_cshuffle_v1INS_13tensor_layout4gemm8RowMajorENS3_11ColumnMajorES4_aaiaaNS_16tensor_operation12element_wise11PassThroughES8_S8_LNS6_6device18GemmSpecializationE0ELNS_25InMemoryDataOperationEnumE0ELi1ELi256ELi256ELi128ELi64ELi16ELi16ELi16ELi16ELi8ELi4ENS_8SequenceIJLi4ELi64ELi1EEEENSC_IJLi1ELi0ELi2EEEESE_Li2ELi16ELi16ELb0ELi1ESD_SE_SE_Li2ELi8ELi8ELb0ELi1ELi1ELi1ENSC_IJLi1ELi32ELi1ELi8EEEELi4ELNS_13LoopSchedulerE0ELNS_15PipelineVersionE0EaaEELb0EEEvNT_8ArgumentE
                                        ; -- End function
	.section	.AMDGPU.csdata,"",@progbits
; Kernel info:
; codeLenInByte = 4436
; NumSgprs: 28
; NumVgprs: 117
; NumAgprs: 0
; TotalNumVgprs: 117
; ScratchSize: 0
; MemoryBound: 0
; FloatMode: 240
; IeeeMode: 1
; LDSByteSize: 24672 bytes/workgroup (compile time only)
; SGPRBlocks: 3
; VGPRBlocks: 14
; NumSGPRsForWavesPerEU: 28
; NumVGPRsForWavesPerEU: 117
; AccumOffset: 120
; Occupancy: 2
; WaveLimiterHint : 0
; COMPUTE_PGM_RSRC2:SCRATCH_EN: 0
; COMPUTE_PGM_RSRC2:USER_SGPR: 6
; COMPUTE_PGM_RSRC2:TRAP_HANDLER: 0
; COMPUTE_PGM_RSRC2:TGID_X_EN: 1
; COMPUTE_PGM_RSRC2:TGID_Y_EN: 0
; COMPUTE_PGM_RSRC2:TGID_Z_EN: 0
; COMPUTE_PGM_RSRC2:TIDIG_COMP_CNT: 0
; COMPUTE_PGM_RSRC3_GFX90A:ACCUM_OFFSET: 29
; COMPUTE_PGM_RSRC3_GFX90A:TG_SPLIT: 0
	.section	.text._ZN2ck27kernel_gemm_xdl_cshuffle_v1INS_43GridwiseGemm_k0mk1_k0nk1_mn_xdl_cshuffle_v1INS_13tensor_layout4gemm8RowMajorENS3_11ColumnMajorES4_aaiaaNS_16tensor_operation12element_wise11PassThroughES8_S8_LNS6_6device18GemmSpecializationE0ELNS_25InMemoryDataOperationEnumE0ELi1ELi256ELi256ELi128ELi64ELi16ELi16ELi16ELi16ELi8ELi2ENS_8SequenceIJLi4ELi64ELi1EEEENSC_IJLi1ELi0ELi2EEEESE_Li2ELi16ELi16ELb0ELi1ESD_SE_SE_Li2ELi8ELi8ELb0ELi1ELi1ELi1ENSC_IJLi1ELi32ELi1ELi8EEEELi4ELNS_13LoopSchedulerE0ELNS_15PipelineVersionE0EaaEELb1EEEvNT_8ArgumentE,"axG",@progbits,_ZN2ck27kernel_gemm_xdl_cshuffle_v1INS_43GridwiseGemm_k0mk1_k0nk1_mn_xdl_cshuffle_v1INS_13tensor_layout4gemm8RowMajorENS3_11ColumnMajorES4_aaiaaNS_16tensor_operation12element_wise11PassThroughES8_S8_LNS6_6device18GemmSpecializationE0ELNS_25InMemoryDataOperationEnumE0ELi1ELi256ELi256ELi128ELi64ELi16ELi16ELi16ELi16ELi8ELi2ENS_8SequenceIJLi4ELi64ELi1EEEENSC_IJLi1ELi0ELi2EEEESE_Li2ELi16ELi16ELb0ELi1ESD_SE_SE_Li2ELi8ELi8ELb0ELi1ELi1ELi1ENSC_IJLi1ELi32ELi1ELi8EEEELi4ELNS_13LoopSchedulerE0ELNS_15PipelineVersionE0EaaEELb1EEEvNT_8ArgumentE,comdat
	.protected	_ZN2ck27kernel_gemm_xdl_cshuffle_v1INS_43GridwiseGemm_k0mk1_k0nk1_mn_xdl_cshuffle_v1INS_13tensor_layout4gemm8RowMajorENS3_11ColumnMajorES4_aaiaaNS_16tensor_operation12element_wise11PassThroughES8_S8_LNS6_6device18GemmSpecializationE0ELNS_25InMemoryDataOperationEnumE0ELi1ELi256ELi256ELi128ELi64ELi16ELi16ELi16ELi16ELi8ELi2ENS_8SequenceIJLi4ELi64ELi1EEEENSC_IJLi1ELi0ELi2EEEESE_Li2ELi16ELi16ELb0ELi1ESD_SE_SE_Li2ELi8ELi8ELb0ELi1ELi1ELi1ENSC_IJLi1ELi32ELi1ELi8EEEELi4ELNS_13LoopSchedulerE0ELNS_15PipelineVersionE0EaaEELb1EEEvNT_8ArgumentE ; -- Begin function _ZN2ck27kernel_gemm_xdl_cshuffle_v1INS_43GridwiseGemm_k0mk1_k0nk1_mn_xdl_cshuffle_v1INS_13tensor_layout4gemm8RowMajorENS3_11ColumnMajorES4_aaiaaNS_16tensor_operation12element_wise11PassThroughES8_S8_LNS6_6device18GemmSpecializationE0ELNS_25InMemoryDataOperationEnumE0ELi1ELi256ELi256ELi128ELi64ELi16ELi16ELi16ELi16ELi8ELi2ENS_8SequenceIJLi4ELi64ELi1EEEENSC_IJLi1ELi0ELi2EEEESE_Li2ELi16ELi16ELb0ELi1ESD_SE_SE_Li2ELi8ELi8ELb0ELi1ELi1ELi1ENSC_IJLi1ELi32ELi1ELi8EEEELi4ELNS_13LoopSchedulerE0ELNS_15PipelineVersionE0EaaEELb1EEEvNT_8ArgumentE
	.globl	_ZN2ck27kernel_gemm_xdl_cshuffle_v1INS_43GridwiseGemm_k0mk1_k0nk1_mn_xdl_cshuffle_v1INS_13tensor_layout4gemm8RowMajorENS3_11ColumnMajorES4_aaiaaNS_16tensor_operation12element_wise11PassThroughES8_S8_LNS6_6device18GemmSpecializationE0ELNS_25InMemoryDataOperationEnumE0ELi1ELi256ELi256ELi128ELi64ELi16ELi16ELi16ELi16ELi8ELi2ENS_8SequenceIJLi4ELi64ELi1EEEENSC_IJLi1ELi0ELi2EEEESE_Li2ELi16ELi16ELb0ELi1ESD_SE_SE_Li2ELi8ELi8ELb0ELi1ELi1ELi1ENSC_IJLi1ELi32ELi1ELi8EEEELi4ELNS_13LoopSchedulerE0ELNS_15PipelineVersionE0EaaEELb1EEEvNT_8ArgumentE
	.p2align	8
	.type	_ZN2ck27kernel_gemm_xdl_cshuffle_v1INS_43GridwiseGemm_k0mk1_k0nk1_mn_xdl_cshuffle_v1INS_13tensor_layout4gemm8RowMajorENS3_11ColumnMajorES4_aaiaaNS_16tensor_operation12element_wise11PassThroughES8_S8_LNS6_6device18GemmSpecializationE0ELNS_25InMemoryDataOperationEnumE0ELi1ELi256ELi256ELi128ELi64ELi16ELi16ELi16ELi16ELi8ELi2ENS_8SequenceIJLi4ELi64ELi1EEEENSC_IJLi1ELi0ELi2EEEESE_Li2ELi16ELi16ELb0ELi1ESD_SE_SE_Li2ELi8ELi8ELb0ELi1ELi1ELi1ENSC_IJLi1ELi32ELi1ELi8EEEELi4ELNS_13LoopSchedulerE0ELNS_15PipelineVersionE0EaaEELb1EEEvNT_8ArgumentE,@function
_ZN2ck27kernel_gemm_xdl_cshuffle_v1INS_43GridwiseGemm_k0mk1_k0nk1_mn_xdl_cshuffle_v1INS_13tensor_layout4gemm8RowMajorENS3_11ColumnMajorES4_aaiaaNS_16tensor_operation12element_wise11PassThroughES8_S8_LNS6_6device18GemmSpecializationE0ELNS_25InMemoryDataOperationEnumE0ELi1ELi256ELi256ELi128ELi64ELi16ELi16ELi16ELi16ELi8ELi2ENS_8SequenceIJLi4ELi64ELi1EEEENSC_IJLi1ELi0ELi2EEEESE_Li2ELi16ELi16ELb0ELi1ESD_SE_SE_Li2ELi8ELi8ELb0ELi1ELi1ELi1ENSC_IJLi1ELi32ELi1ELi8EEEELi4ELNS_13LoopSchedulerE0ELNS_15PipelineVersionE0EaaEELb1EEEvNT_8ArgumentE: ; @_ZN2ck27kernel_gemm_xdl_cshuffle_v1INS_43GridwiseGemm_k0mk1_k0nk1_mn_xdl_cshuffle_v1INS_13tensor_layout4gemm8RowMajorENS3_11ColumnMajorES4_aaiaaNS_16tensor_operation12element_wise11PassThroughES8_S8_LNS6_6device18GemmSpecializationE0ELNS_25InMemoryDataOperationEnumE0ELi1ELi256ELi256ELi128ELi64ELi16ELi16ELi16ELi16ELi8ELi2ENS_8SequenceIJLi4ELi64ELi1EEEENSC_IJLi1ELi0ELi2EEEESE_Li2ELi16ELi16ELb0ELi1ESD_SE_SE_Li2ELi8ELi8ELb0ELi1ELi1ELi1ENSC_IJLi1ELi32ELi1ELi8EEEELi4ELNS_13LoopSchedulerE0ELNS_15PipelineVersionE0EaaEELb1EEEvNT_8ArgumentE
; %bb.0:
	s_endpgm
	.section	.rodata,"a",@progbits
	.p2align	6, 0x0
	.amdhsa_kernel _ZN2ck27kernel_gemm_xdl_cshuffle_v1INS_43GridwiseGemm_k0mk1_k0nk1_mn_xdl_cshuffle_v1INS_13tensor_layout4gemm8RowMajorENS3_11ColumnMajorES4_aaiaaNS_16tensor_operation12element_wise11PassThroughES8_S8_LNS6_6device18GemmSpecializationE0ELNS_25InMemoryDataOperationEnumE0ELi1ELi256ELi256ELi128ELi64ELi16ELi16ELi16ELi16ELi8ELi2ENS_8SequenceIJLi4ELi64ELi1EEEENSC_IJLi1ELi0ELi2EEEESE_Li2ELi16ELi16ELb0ELi1ESD_SE_SE_Li2ELi8ELi8ELb0ELi1ELi1ELi1ENSC_IJLi1ELi32ELi1ELi8EEEELi4ELNS_13LoopSchedulerE0ELNS_15PipelineVersionE0EaaEELb1EEEvNT_8ArgumentE
		.amdhsa_group_segment_fixed_size 0
		.amdhsa_private_segment_fixed_size 0
		.amdhsa_kernarg_size 96
		.amdhsa_user_sgpr_count 6
		.amdhsa_user_sgpr_private_segment_buffer 1
		.amdhsa_user_sgpr_dispatch_ptr 0
		.amdhsa_user_sgpr_queue_ptr 0
		.amdhsa_user_sgpr_kernarg_segment_ptr 1
		.amdhsa_user_sgpr_dispatch_id 0
		.amdhsa_user_sgpr_flat_scratch_init 0
		.amdhsa_user_sgpr_kernarg_preload_length 0
		.amdhsa_user_sgpr_kernarg_preload_offset 0
		.amdhsa_user_sgpr_private_segment_size 0
		.amdhsa_uses_dynamic_stack 0
		.amdhsa_system_sgpr_private_segment_wavefront_offset 0
		.amdhsa_system_sgpr_workgroup_id_x 1
		.amdhsa_system_sgpr_workgroup_id_y 0
		.amdhsa_system_sgpr_workgroup_id_z 0
		.amdhsa_system_sgpr_workgroup_info 0
		.amdhsa_system_vgpr_workitem_id 0
		.amdhsa_next_free_vgpr 1
		.amdhsa_next_free_sgpr 0
		.amdhsa_accum_offset 4
		.amdhsa_reserve_vcc 0
		.amdhsa_reserve_flat_scratch 0
		.amdhsa_float_round_mode_32 0
		.amdhsa_float_round_mode_16_64 0
		.amdhsa_float_denorm_mode_32 3
		.amdhsa_float_denorm_mode_16_64 3
		.amdhsa_dx10_clamp 1
		.amdhsa_ieee_mode 1
		.amdhsa_fp16_overflow 0
		.amdhsa_tg_split 0
		.amdhsa_exception_fp_ieee_invalid_op 0
		.amdhsa_exception_fp_denorm_src 0
		.amdhsa_exception_fp_ieee_div_zero 0
		.amdhsa_exception_fp_ieee_overflow 0
		.amdhsa_exception_fp_ieee_underflow 0
		.amdhsa_exception_fp_ieee_inexact 0
		.amdhsa_exception_int_div_zero 0
	.end_amdhsa_kernel
	.section	.text._ZN2ck27kernel_gemm_xdl_cshuffle_v1INS_43GridwiseGemm_k0mk1_k0nk1_mn_xdl_cshuffle_v1INS_13tensor_layout4gemm8RowMajorENS3_11ColumnMajorES4_aaiaaNS_16tensor_operation12element_wise11PassThroughES8_S8_LNS6_6device18GemmSpecializationE0ELNS_25InMemoryDataOperationEnumE0ELi1ELi256ELi256ELi128ELi64ELi16ELi16ELi16ELi16ELi8ELi2ENS_8SequenceIJLi4ELi64ELi1EEEENSC_IJLi1ELi0ELi2EEEESE_Li2ELi16ELi16ELb0ELi1ESD_SE_SE_Li2ELi8ELi8ELb0ELi1ELi1ELi1ENSC_IJLi1ELi32ELi1ELi8EEEELi4ELNS_13LoopSchedulerE0ELNS_15PipelineVersionE0EaaEELb1EEEvNT_8ArgumentE,"axG",@progbits,_ZN2ck27kernel_gemm_xdl_cshuffle_v1INS_43GridwiseGemm_k0mk1_k0nk1_mn_xdl_cshuffle_v1INS_13tensor_layout4gemm8RowMajorENS3_11ColumnMajorES4_aaiaaNS_16tensor_operation12element_wise11PassThroughES8_S8_LNS6_6device18GemmSpecializationE0ELNS_25InMemoryDataOperationEnumE0ELi1ELi256ELi256ELi128ELi64ELi16ELi16ELi16ELi16ELi8ELi2ENS_8SequenceIJLi4ELi64ELi1EEEENSC_IJLi1ELi0ELi2EEEESE_Li2ELi16ELi16ELb0ELi1ESD_SE_SE_Li2ELi8ELi8ELb0ELi1ELi1ELi1ENSC_IJLi1ELi32ELi1ELi8EEEELi4ELNS_13LoopSchedulerE0ELNS_15PipelineVersionE0EaaEELb1EEEvNT_8ArgumentE,comdat
.Lfunc_end3:
	.size	_ZN2ck27kernel_gemm_xdl_cshuffle_v1INS_43GridwiseGemm_k0mk1_k0nk1_mn_xdl_cshuffle_v1INS_13tensor_layout4gemm8RowMajorENS3_11ColumnMajorES4_aaiaaNS_16tensor_operation12element_wise11PassThroughES8_S8_LNS6_6device18GemmSpecializationE0ELNS_25InMemoryDataOperationEnumE0ELi1ELi256ELi256ELi128ELi64ELi16ELi16ELi16ELi16ELi8ELi2ENS_8SequenceIJLi4ELi64ELi1EEEENSC_IJLi1ELi0ELi2EEEESE_Li2ELi16ELi16ELb0ELi1ESD_SE_SE_Li2ELi8ELi8ELb0ELi1ELi1ELi1ENSC_IJLi1ELi32ELi1ELi8EEEELi4ELNS_13LoopSchedulerE0ELNS_15PipelineVersionE0EaaEELb1EEEvNT_8ArgumentE, .Lfunc_end3-_ZN2ck27kernel_gemm_xdl_cshuffle_v1INS_43GridwiseGemm_k0mk1_k0nk1_mn_xdl_cshuffle_v1INS_13tensor_layout4gemm8RowMajorENS3_11ColumnMajorES4_aaiaaNS_16tensor_operation12element_wise11PassThroughES8_S8_LNS6_6device18GemmSpecializationE0ELNS_25InMemoryDataOperationEnumE0ELi1ELi256ELi256ELi128ELi64ELi16ELi16ELi16ELi16ELi8ELi2ENS_8SequenceIJLi4ELi64ELi1EEEENSC_IJLi1ELi0ELi2EEEESE_Li2ELi16ELi16ELb0ELi1ESD_SE_SE_Li2ELi8ELi8ELb0ELi1ELi1ELi1ENSC_IJLi1ELi32ELi1ELi8EEEELi4ELNS_13LoopSchedulerE0ELNS_15PipelineVersionE0EaaEELb1EEEvNT_8ArgumentE
                                        ; -- End function
	.section	.AMDGPU.csdata,"",@progbits
; Kernel info:
; codeLenInByte = 4
; NumSgprs: 4
; NumVgprs: 0
; NumAgprs: 0
; TotalNumVgprs: 0
; ScratchSize: 0
; MemoryBound: 0
; FloatMode: 240
; IeeeMode: 1
; LDSByteSize: 0 bytes/workgroup (compile time only)
; SGPRBlocks: 0
; VGPRBlocks: 0
; NumSGPRsForWavesPerEU: 4
; NumVGPRsForWavesPerEU: 1
; AccumOffset: 4
; Occupancy: 8
; WaveLimiterHint : 0
; COMPUTE_PGM_RSRC2:SCRATCH_EN: 0
; COMPUTE_PGM_RSRC2:USER_SGPR: 6
; COMPUTE_PGM_RSRC2:TRAP_HANDLER: 0
; COMPUTE_PGM_RSRC2:TGID_X_EN: 1
; COMPUTE_PGM_RSRC2:TGID_Y_EN: 0
; COMPUTE_PGM_RSRC2:TGID_Z_EN: 0
; COMPUTE_PGM_RSRC2:TIDIG_COMP_CNT: 0
; COMPUTE_PGM_RSRC3_GFX90A:ACCUM_OFFSET: 0
; COMPUTE_PGM_RSRC3_GFX90A:TG_SPLIT: 0
	.section	.text._ZN2ck27kernel_gemm_xdl_cshuffle_v1INS_43GridwiseGemm_k0mk1_k0nk1_mn_xdl_cshuffle_v1INS_13tensor_layout4gemm8RowMajorENS3_11ColumnMajorES4_aaiaaNS_16tensor_operation12element_wise11PassThroughES8_S8_LNS6_6device18GemmSpecializationE0ELNS_25InMemoryDataOperationEnumE0ELi1ELi256ELi256ELi128ELi64ELi16ELi16ELi16ELi16ELi8ELi2ENS_8SequenceIJLi4ELi64ELi1EEEENSC_IJLi1ELi0ELi2EEEESE_Li2ELi16ELi16ELb0ELi1ESD_SE_SE_Li2ELi8ELi8ELb0ELi1ELi1ELi1ENSC_IJLi1ELi32ELi1ELi8EEEELi4ELNS_13LoopSchedulerE0ELNS_15PipelineVersionE0EaaEELb0EEEvNT_8ArgumentE,"axG",@progbits,_ZN2ck27kernel_gemm_xdl_cshuffle_v1INS_43GridwiseGemm_k0mk1_k0nk1_mn_xdl_cshuffle_v1INS_13tensor_layout4gemm8RowMajorENS3_11ColumnMajorES4_aaiaaNS_16tensor_operation12element_wise11PassThroughES8_S8_LNS6_6device18GemmSpecializationE0ELNS_25InMemoryDataOperationEnumE0ELi1ELi256ELi256ELi128ELi64ELi16ELi16ELi16ELi16ELi8ELi2ENS_8SequenceIJLi4ELi64ELi1EEEENSC_IJLi1ELi0ELi2EEEESE_Li2ELi16ELi16ELb0ELi1ESD_SE_SE_Li2ELi8ELi8ELb0ELi1ELi1ELi1ENSC_IJLi1ELi32ELi1ELi8EEEELi4ELNS_13LoopSchedulerE0ELNS_15PipelineVersionE0EaaEELb0EEEvNT_8ArgumentE,comdat
	.protected	_ZN2ck27kernel_gemm_xdl_cshuffle_v1INS_43GridwiseGemm_k0mk1_k0nk1_mn_xdl_cshuffle_v1INS_13tensor_layout4gemm8RowMajorENS3_11ColumnMajorES4_aaiaaNS_16tensor_operation12element_wise11PassThroughES8_S8_LNS6_6device18GemmSpecializationE0ELNS_25InMemoryDataOperationEnumE0ELi1ELi256ELi256ELi128ELi64ELi16ELi16ELi16ELi16ELi8ELi2ENS_8SequenceIJLi4ELi64ELi1EEEENSC_IJLi1ELi0ELi2EEEESE_Li2ELi16ELi16ELb0ELi1ESD_SE_SE_Li2ELi8ELi8ELb0ELi1ELi1ELi1ENSC_IJLi1ELi32ELi1ELi8EEEELi4ELNS_13LoopSchedulerE0ELNS_15PipelineVersionE0EaaEELb0EEEvNT_8ArgumentE ; -- Begin function _ZN2ck27kernel_gemm_xdl_cshuffle_v1INS_43GridwiseGemm_k0mk1_k0nk1_mn_xdl_cshuffle_v1INS_13tensor_layout4gemm8RowMajorENS3_11ColumnMajorES4_aaiaaNS_16tensor_operation12element_wise11PassThroughES8_S8_LNS6_6device18GemmSpecializationE0ELNS_25InMemoryDataOperationEnumE0ELi1ELi256ELi256ELi128ELi64ELi16ELi16ELi16ELi16ELi8ELi2ENS_8SequenceIJLi4ELi64ELi1EEEENSC_IJLi1ELi0ELi2EEEESE_Li2ELi16ELi16ELb0ELi1ESD_SE_SE_Li2ELi8ELi8ELb0ELi1ELi1ELi1ENSC_IJLi1ELi32ELi1ELi8EEEELi4ELNS_13LoopSchedulerE0ELNS_15PipelineVersionE0EaaEELb0EEEvNT_8ArgumentE
	.globl	_ZN2ck27kernel_gemm_xdl_cshuffle_v1INS_43GridwiseGemm_k0mk1_k0nk1_mn_xdl_cshuffle_v1INS_13tensor_layout4gemm8RowMajorENS3_11ColumnMajorES4_aaiaaNS_16tensor_operation12element_wise11PassThroughES8_S8_LNS6_6device18GemmSpecializationE0ELNS_25InMemoryDataOperationEnumE0ELi1ELi256ELi256ELi128ELi64ELi16ELi16ELi16ELi16ELi8ELi2ENS_8SequenceIJLi4ELi64ELi1EEEENSC_IJLi1ELi0ELi2EEEESE_Li2ELi16ELi16ELb0ELi1ESD_SE_SE_Li2ELi8ELi8ELb0ELi1ELi1ELi1ENSC_IJLi1ELi32ELi1ELi8EEEELi4ELNS_13LoopSchedulerE0ELNS_15PipelineVersionE0EaaEELb0EEEvNT_8ArgumentE
	.p2align	8
	.type	_ZN2ck27kernel_gemm_xdl_cshuffle_v1INS_43GridwiseGemm_k0mk1_k0nk1_mn_xdl_cshuffle_v1INS_13tensor_layout4gemm8RowMajorENS3_11ColumnMajorES4_aaiaaNS_16tensor_operation12element_wise11PassThroughES8_S8_LNS6_6device18GemmSpecializationE0ELNS_25InMemoryDataOperationEnumE0ELi1ELi256ELi256ELi128ELi64ELi16ELi16ELi16ELi16ELi8ELi2ENS_8SequenceIJLi4ELi64ELi1EEEENSC_IJLi1ELi0ELi2EEEESE_Li2ELi16ELi16ELb0ELi1ESD_SE_SE_Li2ELi8ELi8ELb0ELi1ELi1ELi1ENSC_IJLi1ELi32ELi1ELi8EEEELi4ELNS_13LoopSchedulerE0ELNS_15PipelineVersionE0EaaEELb0EEEvNT_8ArgumentE,@function
_ZN2ck27kernel_gemm_xdl_cshuffle_v1INS_43GridwiseGemm_k0mk1_k0nk1_mn_xdl_cshuffle_v1INS_13tensor_layout4gemm8RowMajorENS3_11ColumnMajorES4_aaiaaNS_16tensor_operation12element_wise11PassThroughES8_S8_LNS6_6device18GemmSpecializationE0ELNS_25InMemoryDataOperationEnumE0ELi1ELi256ELi256ELi128ELi64ELi16ELi16ELi16ELi16ELi8ELi2ENS_8SequenceIJLi4ELi64ELi1EEEENSC_IJLi1ELi0ELi2EEEESE_Li2ELi16ELi16ELb0ELi1ESD_SE_SE_Li2ELi8ELi8ELb0ELi1ELi1ELi1ENSC_IJLi1ELi32ELi1ELi8EEEELi4ELNS_13LoopSchedulerE0ELNS_15PipelineVersionE0EaaEELb0EEEvNT_8ArgumentE: ; @_ZN2ck27kernel_gemm_xdl_cshuffle_v1INS_43GridwiseGemm_k0mk1_k0nk1_mn_xdl_cshuffle_v1INS_13tensor_layout4gemm8RowMajorENS3_11ColumnMajorES4_aaiaaNS_16tensor_operation12element_wise11PassThroughES8_S8_LNS6_6device18GemmSpecializationE0ELNS_25InMemoryDataOperationEnumE0ELi1ELi256ELi256ELi128ELi64ELi16ELi16ELi16ELi16ELi8ELi2ENS_8SequenceIJLi4ELi64ELi1EEEENSC_IJLi1ELi0ELi2EEEESE_Li2ELi16ELi16ELb0ELi1ESD_SE_SE_Li2ELi8ELi8ELb0ELi1ELi1ELi1ENSC_IJLi1ELi32ELi1ELi8EEEELi4ELNS_13LoopSchedulerE0ELNS_15PipelineVersionE0EaaEELb0EEEvNT_8ArgumentE
; %bb.0:
	s_endpgm
	.section	.rodata,"a",@progbits
	.p2align	6, 0x0
	.amdhsa_kernel _ZN2ck27kernel_gemm_xdl_cshuffle_v1INS_43GridwiseGemm_k0mk1_k0nk1_mn_xdl_cshuffle_v1INS_13tensor_layout4gemm8RowMajorENS3_11ColumnMajorES4_aaiaaNS_16tensor_operation12element_wise11PassThroughES8_S8_LNS6_6device18GemmSpecializationE0ELNS_25InMemoryDataOperationEnumE0ELi1ELi256ELi256ELi128ELi64ELi16ELi16ELi16ELi16ELi8ELi2ENS_8SequenceIJLi4ELi64ELi1EEEENSC_IJLi1ELi0ELi2EEEESE_Li2ELi16ELi16ELb0ELi1ESD_SE_SE_Li2ELi8ELi8ELb0ELi1ELi1ELi1ENSC_IJLi1ELi32ELi1ELi8EEEELi4ELNS_13LoopSchedulerE0ELNS_15PipelineVersionE0EaaEELb0EEEvNT_8ArgumentE
		.amdhsa_group_segment_fixed_size 0
		.amdhsa_private_segment_fixed_size 0
		.amdhsa_kernarg_size 96
		.amdhsa_user_sgpr_count 6
		.amdhsa_user_sgpr_private_segment_buffer 1
		.amdhsa_user_sgpr_dispatch_ptr 0
		.amdhsa_user_sgpr_queue_ptr 0
		.amdhsa_user_sgpr_kernarg_segment_ptr 1
		.amdhsa_user_sgpr_dispatch_id 0
		.amdhsa_user_sgpr_flat_scratch_init 0
		.amdhsa_user_sgpr_kernarg_preload_length 0
		.amdhsa_user_sgpr_kernarg_preload_offset 0
		.amdhsa_user_sgpr_private_segment_size 0
		.amdhsa_uses_dynamic_stack 0
		.amdhsa_system_sgpr_private_segment_wavefront_offset 0
		.amdhsa_system_sgpr_workgroup_id_x 1
		.amdhsa_system_sgpr_workgroup_id_y 0
		.amdhsa_system_sgpr_workgroup_id_z 0
		.amdhsa_system_sgpr_workgroup_info 0
		.amdhsa_system_vgpr_workitem_id 0
		.amdhsa_next_free_vgpr 1
		.amdhsa_next_free_sgpr 0
		.amdhsa_accum_offset 4
		.amdhsa_reserve_vcc 0
		.amdhsa_reserve_flat_scratch 0
		.amdhsa_float_round_mode_32 0
		.amdhsa_float_round_mode_16_64 0
		.amdhsa_float_denorm_mode_32 3
		.amdhsa_float_denorm_mode_16_64 3
		.amdhsa_dx10_clamp 1
		.amdhsa_ieee_mode 1
		.amdhsa_fp16_overflow 0
		.amdhsa_tg_split 0
		.amdhsa_exception_fp_ieee_invalid_op 0
		.amdhsa_exception_fp_denorm_src 0
		.amdhsa_exception_fp_ieee_div_zero 0
		.amdhsa_exception_fp_ieee_overflow 0
		.amdhsa_exception_fp_ieee_underflow 0
		.amdhsa_exception_fp_ieee_inexact 0
		.amdhsa_exception_int_div_zero 0
	.end_amdhsa_kernel
	.section	.text._ZN2ck27kernel_gemm_xdl_cshuffle_v1INS_43GridwiseGemm_k0mk1_k0nk1_mn_xdl_cshuffle_v1INS_13tensor_layout4gemm8RowMajorENS3_11ColumnMajorES4_aaiaaNS_16tensor_operation12element_wise11PassThroughES8_S8_LNS6_6device18GemmSpecializationE0ELNS_25InMemoryDataOperationEnumE0ELi1ELi256ELi256ELi128ELi64ELi16ELi16ELi16ELi16ELi8ELi2ENS_8SequenceIJLi4ELi64ELi1EEEENSC_IJLi1ELi0ELi2EEEESE_Li2ELi16ELi16ELb0ELi1ESD_SE_SE_Li2ELi8ELi8ELb0ELi1ELi1ELi1ENSC_IJLi1ELi32ELi1ELi8EEEELi4ELNS_13LoopSchedulerE0ELNS_15PipelineVersionE0EaaEELb0EEEvNT_8ArgumentE,"axG",@progbits,_ZN2ck27kernel_gemm_xdl_cshuffle_v1INS_43GridwiseGemm_k0mk1_k0nk1_mn_xdl_cshuffle_v1INS_13tensor_layout4gemm8RowMajorENS3_11ColumnMajorES4_aaiaaNS_16tensor_operation12element_wise11PassThroughES8_S8_LNS6_6device18GemmSpecializationE0ELNS_25InMemoryDataOperationEnumE0ELi1ELi256ELi256ELi128ELi64ELi16ELi16ELi16ELi16ELi8ELi2ENS_8SequenceIJLi4ELi64ELi1EEEENSC_IJLi1ELi0ELi2EEEESE_Li2ELi16ELi16ELb0ELi1ESD_SE_SE_Li2ELi8ELi8ELb0ELi1ELi1ELi1ENSC_IJLi1ELi32ELi1ELi8EEEELi4ELNS_13LoopSchedulerE0ELNS_15PipelineVersionE0EaaEELb0EEEvNT_8ArgumentE,comdat
.Lfunc_end4:
	.size	_ZN2ck27kernel_gemm_xdl_cshuffle_v1INS_43GridwiseGemm_k0mk1_k0nk1_mn_xdl_cshuffle_v1INS_13tensor_layout4gemm8RowMajorENS3_11ColumnMajorES4_aaiaaNS_16tensor_operation12element_wise11PassThroughES8_S8_LNS6_6device18GemmSpecializationE0ELNS_25InMemoryDataOperationEnumE0ELi1ELi256ELi256ELi128ELi64ELi16ELi16ELi16ELi16ELi8ELi2ENS_8SequenceIJLi4ELi64ELi1EEEENSC_IJLi1ELi0ELi2EEEESE_Li2ELi16ELi16ELb0ELi1ESD_SE_SE_Li2ELi8ELi8ELb0ELi1ELi1ELi1ENSC_IJLi1ELi32ELi1ELi8EEEELi4ELNS_13LoopSchedulerE0ELNS_15PipelineVersionE0EaaEELb0EEEvNT_8ArgumentE, .Lfunc_end4-_ZN2ck27kernel_gemm_xdl_cshuffle_v1INS_43GridwiseGemm_k0mk1_k0nk1_mn_xdl_cshuffle_v1INS_13tensor_layout4gemm8RowMajorENS3_11ColumnMajorES4_aaiaaNS_16tensor_operation12element_wise11PassThroughES8_S8_LNS6_6device18GemmSpecializationE0ELNS_25InMemoryDataOperationEnumE0ELi1ELi256ELi256ELi128ELi64ELi16ELi16ELi16ELi16ELi8ELi2ENS_8SequenceIJLi4ELi64ELi1EEEENSC_IJLi1ELi0ELi2EEEESE_Li2ELi16ELi16ELb0ELi1ESD_SE_SE_Li2ELi8ELi8ELb0ELi1ELi1ELi1ENSC_IJLi1ELi32ELi1ELi8EEEELi4ELNS_13LoopSchedulerE0ELNS_15PipelineVersionE0EaaEELb0EEEvNT_8ArgumentE
                                        ; -- End function
	.section	.AMDGPU.csdata,"",@progbits
; Kernel info:
; codeLenInByte = 4
; NumSgprs: 4
; NumVgprs: 0
; NumAgprs: 0
; TotalNumVgprs: 0
; ScratchSize: 0
; MemoryBound: 0
; FloatMode: 240
; IeeeMode: 1
; LDSByteSize: 0 bytes/workgroup (compile time only)
; SGPRBlocks: 0
; VGPRBlocks: 0
; NumSGPRsForWavesPerEU: 4
; NumVGPRsForWavesPerEU: 1
; AccumOffset: 4
; Occupancy: 8
; WaveLimiterHint : 0
; COMPUTE_PGM_RSRC2:SCRATCH_EN: 0
; COMPUTE_PGM_RSRC2:USER_SGPR: 6
; COMPUTE_PGM_RSRC2:TRAP_HANDLER: 0
; COMPUTE_PGM_RSRC2:TGID_X_EN: 1
; COMPUTE_PGM_RSRC2:TGID_Y_EN: 0
; COMPUTE_PGM_RSRC2:TGID_Z_EN: 0
; COMPUTE_PGM_RSRC2:TIDIG_COMP_CNT: 0
; COMPUTE_PGM_RSRC3_GFX90A:ACCUM_OFFSET: 0
; COMPUTE_PGM_RSRC3_GFX90A:TG_SPLIT: 0
	.section	.text._ZN2ck17naive_gemm_kernelINS_13tensor_layout4gemm8RowMajorENS2_11ColumnMajorES3_aaaiNS_16tensor_operation12element_wise11PassThroughES7_S7_aaEEvPKT2_PKT3_PT4_iiiT6_T7_T8_,"axG",@progbits,_ZN2ck17naive_gemm_kernelINS_13tensor_layout4gemm8RowMajorENS2_11ColumnMajorES3_aaaiNS_16tensor_operation12element_wise11PassThroughES7_S7_aaEEvPKT2_PKT3_PT4_iiiT6_T7_T8_,comdat
	.protected	_ZN2ck17naive_gemm_kernelINS_13tensor_layout4gemm8RowMajorENS2_11ColumnMajorES3_aaaiNS_16tensor_operation12element_wise11PassThroughES7_S7_aaEEvPKT2_PKT3_PT4_iiiT6_T7_T8_ ; -- Begin function _ZN2ck17naive_gemm_kernelINS_13tensor_layout4gemm8RowMajorENS2_11ColumnMajorES3_aaaiNS_16tensor_operation12element_wise11PassThroughES7_S7_aaEEvPKT2_PKT3_PT4_iiiT6_T7_T8_
	.globl	_ZN2ck17naive_gemm_kernelINS_13tensor_layout4gemm8RowMajorENS2_11ColumnMajorES3_aaaiNS_16tensor_operation12element_wise11PassThroughES7_S7_aaEEvPKT2_PKT3_PT4_iiiT6_T7_T8_
	.p2align	8
	.type	_ZN2ck17naive_gemm_kernelINS_13tensor_layout4gemm8RowMajorENS2_11ColumnMajorES3_aaaiNS_16tensor_operation12element_wise11PassThroughES7_S7_aaEEvPKT2_PKT3_PT4_iiiT6_T7_T8_,@function
_ZN2ck17naive_gemm_kernelINS_13tensor_layout4gemm8RowMajorENS2_11ColumnMajorES3_aaaiNS_16tensor_operation12element_wise11PassThroughES7_S7_aaEEvPKT2_PKT3_PT4_iiiT6_T7_T8_: ; @_ZN2ck17naive_gemm_kernelINS_13tensor_layout4gemm8RowMajorENS2_11ColumnMajorES3_aaaiNS_16tensor_operation12element_wise11PassThroughES7_S7_aaEEvPKT2_PKT3_PT4_iiiT6_T7_T8_
; %bb.0:
	s_load_dword s0, s[4:5], 0x34
	s_load_dwordx4 s[8:11], s[4:5], 0x18
	v_and_b32_e32 v1, 0x3ff, v0
	v_bfe_u32 v0, v0, 10, 10
	s_waitcnt lgkmcnt(0)
	s_lshr_b32 s1, s0, 16
	s_and_b32 s0, s0, 0xffff
	s_mul_i32 s6, s6, s0
	s_mul_i32 s7, s7, s1
	v_add_u32_e32 v1, s6, v1
	v_add_u32_e32 v0, s7, v0
	v_cmp_gt_i32_e32 vcc, s8, v1
	v_cmp_gt_i32_e64 s[0:1], s9, v0
	s_and_b64 s[0:1], vcc, s[0:1]
	s_and_saveexec_b64 s[2:3], s[0:1]
	s_cbranch_execz .LBB5_11
; %bb.1:
	s_load_dwordx2 s[2:3], s[4:5], 0x10
	s_cmp_lt_i32 s10, 1
	s_cbranch_scc1 .LBB5_6
; %bb.2:
	s_load_dwordx4 s[4:7], s[4:5], 0x0
	v_mul_lo_u32 v4, v1, s10
	v_mul_lo_u32 v2, v0, s10
	s_mov_b32 s8, 0
	s_cmp_lg_u32 s10, 1
	v_mov_b32_e32 v6, 0
	s_cbranch_scc0 .LBB5_7
; %bb.3:
	s_and_b32 s8, s10, 0x7ffffffe
	v_mov_b32_e32 v3, 0
	s_waitcnt lgkmcnt(0)
	v_mov_b32_e32 v5, s5
	v_mov_b32_e32 v6, s7
	s_mov_b32 s11, s8
	v_mov_b32_e32 v7, v2
	v_mov_b32_e32 v8, v4
	;; [unrolled: 1-line block ×3, first 2 shown]
.LBB5_4:                                ; =>This Inner Loop Header: Depth=1
	v_ashrrev_i32_e32 v11, 31, v8
	v_add_co_u32_e64 v12, s[0:1], s4, v8
	v_ashrrev_i32_e32 v14, 31, v7
	v_add_co_u32_e32 v10, vcc, s6, v7
	v_addc_co_u32_e64 v13, s[0:1], v5, v11, s[0:1]
	v_addc_co_u32_e32 v11, vcc, v6, v14, vcc
	global_load_ushort v14, v[12:13], off
	global_load_ushort v15, v[10:11], off
	s_add_i32 s11, s11, -2
	v_add_u32_e32 v8, 2, v8
	v_add_u32_e32 v7, 2, v7
	s_cmp_lg_u32 s11, 0
	s_waitcnt vmcnt(1)
	v_and_b32_e32 v10, 0xff, v14
	v_lshrrev_b16_e32 v11, 8, v14
	s_waitcnt vmcnt(0)
	v_and_b32_e32 v12, 0xff, v15
	v_lshrrev_b16_e32 v13, 8, v15
	v_mad_u32_u24 v9, v13, v11, v9
	v_mad_u32_u24 v3, v12, v10, v3
	s_cbranch_scc1 .LBB5_4
; %bb.5:
	s_cmp_lg_u32 s8, s10
	v_add_u32_e32 v6, v3, v9
	s_cselect_b64 s[0:1], -1, 0
	s_and_b64 vcc, exec, s[0:1]
	s_cbranch_vccnz .LBB5_8
	s_branch .LBB5_10
.LBB5_6:
	v_mov_b32_e32 v6, 0
	s_branch .LBB5_10
.LBB5_7:
	s_cbranch_execz .LBB5_10
.LBB5_8:
	s_sub_i32 s0, s10, s8
	s_waitcnt lgkmcnt(0)
	s_add_u32 s1, s6, s8
	s_addc_u32 s6, s7, 0
	v_ashrrev_i32_e32 v3, 31, v2
	v_mov_b32_e32 v5, s6
	v_add_co_u32_e32 v2, vcc, s1, v2
	s_add_u32 s1, s4, s8
	v_addc_co_u32_e32 v3, vcc, v5, v3, vcc
	s_addc_u32 s4, s5, 0
	v_ashrrev_i32_e32 v5, 31, v4
	v_mov_b32_e32 v7, s4
	v_add_co_u32_e32 v4, vcc, s1, v4
	v_addc_co_u32_e32 v5, vcc, v7, v5, vcc
.LBB5_9:                                ; =>This Inner Loop Header: Depth=1
	global_load_ubyte v7, v[4:5], off
	global_load_ubyte v8, v[2:3], off
	v_add_co_u32_e32 v2, vcc, 1, v2
	v_addc_co_u32_e32 v3, vcc, 0, v3, vcc
	s_add_i32 s0, s0, -1
	v_add_co_u32_e32 v4, vcc, 1, v4
	v_addc_co_u32_e32 v5, vcc, 0, v5, vcc
	s_cmp_eq_u32 s0, 0
	s_waitcnt vmcnt(0)
	v_mad_u32_u24 v6, v8, v7, v6
	s_cbranch_scc0 .LBB5_9
.LBB5_10:
	v_mad_u64_u32 v[0:1], s[0:1], v1, s9, v[0:1]
	v_ashrrev_i32_e32 v1, 31, v0
	s_waitcnt lgkmcnt(0)
	v_mov_b32_e32 v2, s3
	v_add_co_u32_e32 v0, vcc, s2, v0
	v_addc_co_u32_e32 v1, vcc, v2, v1, vcc
	global_store_byte v[0:1], v6, off
.LBB5_11:
	s_endpgm
	.section	.rodata,"a",@progbits
	.p2align	6, 0x0
	.amdhsa_kernel _ZN2ck17naive_gemm_kernelINS_13tensor_layout4gemm8RowMajorENS2_11ColumnMajorES3_aaaiNS_16tensor_operation12element_wise11PassThroughES7_S7_aaEEvPKT2_PKT3_PT4_iiiT6_T7_T8_
		.amdhsa_group_segment_fixed_size 0
		.amdhsa_private_segment_fixed_size 0
		.amdhsa_kernarg_size 296
		.amdhsa_user_sgpr_count 6
		.amdhsa_user_sgpr_private_segment_buffer 1
		.amdhsa_user_sgpr_dispatch_ptr 0
		.amdhsa_user_sgpr_queue_ptr 0
		.amdhsa_user_sgpr_kernarg_segment_ptr 1
		.amdhsa_user_sgpr_dispatch_id 0
		.amdhsa_user_sgpr_flat_scratch_init 0
		.amdhsa_user_sgpr_kernarg_preload_length 0
		.amdhsa_user_sgpr_kernarg_preload_offset 0
		.amdhsa_user_sgpr_private_segment_size 0
		.amdhsa_uses_dynamic_stack 0
		.amdhsa_system_sgpr_private_segment_wavefront_offset 0
		.amdhsa_system_sgpr_workgroup_id_x 1
		.amdhsa_system_sgpr_workgroup_id_y 1
		.amdhsa_system_sgpr_workgroup_id_z 0
		.amdhsa_system_sgpr_workgroup_info 0
		.amdhsa_system_vgpr_workitem_id 1
		.amdhsa_next_free_vgpr 16
		.amdhsa_next_free_sgpr 12
		.amdhsa_accum_offset 16
		.amdhsa_reserve_vcc 1
		.amdhsa_reserve_flat_scratch 0
		.amdhsa_float_round_mode_32 0
		.amdhsa_float_round_mode_16_64 0
		.amdhsa_float_denorm_mode_32 3
		.amdhsa_float_denorm_mode_16_64 3
		.amdhsa_dx10_clamp 1
		.amdhsa_ieee_mode 1
		.amdhsa_fp16_overflow 0
		.amdhsa_tg_split 0
		.amdhsa_exception_fp_ieee_invalid_op 0
		.amdhsa_exception_fp_denorm_src 0
		.amdhsa_exception_fp_ieee_div_zero 0
		.amdhsa_exception_fp_ieee_overflow 0
		.amdhsa_exception_fp_ieee_underflow 0
		.amdhsa_exception_fp_ieee_inexact 0
		.amdhsa_exception_int_div_zero 0
	.end_amdhsa_kernel
	.section	.text._ZN2ck17naive_gemm_kernelINS_13tensor_layout4gemm8RowMajorENS2_11ColumnMajorES3_aaaiNS_16tensor_operation12element_wise11PassThroughES7_S7_aaEEvPKT2_PKT3_PT4_iiiT6_T7_T8_,"axG",@progbits,_ZN2ck17naive_gemm_kernelINS_13tensor_layout4gemm8RowMajorENS2_11ColumnMajorES3_aaaiNS_16tensor_operation12element_wise11PassThroughES7_S7_aaEEvPKT2_PKT3_PT4_iiiT6_T7_T8_,comdat
.Lfunc_end5:
	.size	_ZN2ck17naive_gemm_kernelINS_13tensor_layout4gemm8RowMajorENS2_11ColumnMajorES3_aaaiNS_16tensor_operation12element_wise11PassThroughES7_S7_aaEEvPKT2_PKT3_PT4_iiiT6_T7_T8_, .Lfunc_end5-_ZN2ck17naive_gemm_kernelINS_13tensor_layout4gemm8RowMajorENS2_11ColumnMajorES3_aaaiNS_16tensor_operation12element_wise11PassThroughES7_S7_aaEEvPKT2_PKT3_PT4_iiiT6_T7_T8_
                                        ; -- End function
	.section	.AMDGPU.csdata,"",@progbits
; Kernel info:
; codeLenInByte = 488
; NumSgprs: 16
; NumVgprs: 16
; NumAgprs: 0
; TotalNumVgprs: 16
; ScratchSize: 0
; MemoryBound: 0
; FloatMode: 240
; IeeeMode: 1
; LDSByteSize: 0 bytes/workgroup (compile time only)
; SGPRBlocks: 1
; VGPRBlocks: 1
; NumSGPRsForWavesPerEU: 16
; NumVGPRsForWavesPerEU: 16
; AccumOffset: 16
; Occupancy: 8
; WaveLimiterHint : 0
; COMPUTE_PGM_RSRC2:SCRATCH_EN: 0
; COMPUTE_PGM_RSRC2:USER_SGPR: 6
; COMPUTE_PGM_RSRC2:TRAP_HANDLER: 0
; COMPUTE_PGM_RSRC2:TGID_X_EN: 1
; COMPUTE_PGM_RSRC2:TGID_Y_EN: 1
; COMPUTE_PGM_RSRC2:TGID_Z_EN: 0
; COMPUTE_PGM_RSRC2:TIDIG_COMP_CNT: 1
; COMPUTE_PGM_RSRC3_GFX90A:ACCUM_OFFSET: 3
; COMPUTE_PGM_RSRC3_GFX90A:TG_SPLIT: 0
	.text
	.p2alignl 6, 3212836864
	.fill 256, 4, 3212836864
	.type	__hip_cuid_d4bef63cd63f3057,@object ; @__hip_cuid_d4bef63cd63f3057
	.section	.bss,"aw",@nobits
	.globl	__hip_cuid_d4bef63cd63f3057
__hip_cuid_d4bef63cd63f3057:
	.byte	0                               ; 0x0
	.size	__hip_cuid_d4bef63cd63f3057, 1

	.ident	"AMD clang version 19.0.0git (https://github.com/RadeonOpenCompute/llvm-project roc-6.4.0 25133 c7fe45cf4b819c5991fe208aaa96edf142730f1d)"
	.section	".note.GNU-stack","",@progbits
	.addrsig
	.addrsig_sym __hip_cuid_d4bef63cd63f3057
	.amdgpu_metadata
---
amdhsa.kernels:
  - .agpr_count:     0
    .args:           []
    .group_segment_fixed_size: 0
    .kernarg_segment_align: 4
    .kernarg_segment_size: 0
    .language:       OpenCL C
    .language_version:
      - 2
      - 0
    .max_flat_workgroup_size: 1024
    .name:           _ZN2ckL12flush_icacheEv
    .private_segment_fixed_size: 0
    .sgpr_count:     4
    .sgpr_spill_count: 0
    .symbol:         _ZN2ckL12flush_icacheEv.kd
    .uniform_work_group_size: 1
    .uses_dynamic_stack: false
    .vgpr_count:     0
    .vgpr_spill_count: 0
    .wavefront_size: 64
  - .agpr_count:     0
    .args:
      - .offset:         0
        .size:           96
        .value_kind:     by_value
    .group_segment_fixed_size: 24672
    .kernarg_segment_align: 8
    .kernarg_segment_size: 96
    .language:       OpenCL C
    .language_version:
      - 2
      - 0
    .max_flat_workgroup_size: 256
    .name:           _ZN2ck27kernel_gemm_xdl_cshuffle_v1INS_43GridwiseGemm_k0mk1_k0nk1_mn_xdl_cshuffle_v1INS_13tensor_layout4gemm8RowMajorENS3_11ColumnMajorES4_aaiaaNS_16tensor_operation12element_wise11PassThroughES8_S8_LNS6_6device18GemmSpecializationE0ELNS_25InMemoryDataOperationEnumE0ELi1ELi256ELi256ELi128ELi64ELi16ELi16ELi16ELi16ELi8ELi4ENS_8SequenceIJLi4ELi64ELi1EEEENSC_IJLi1ELi0ELi2EEEESE_Li2ELi16ELi16ELb0ELi1ESD_SE_SE_Li2ELi8ELi8ELb0ELi1ELi1ELi1ENSC_IJLi1ELi32ELi1ELi8EEEELi4ELNS_13LoopSchedulerE0ELNS_15PipelineVersionE0EaaEELb1EEEvNT_8ArgumentE
    .private_segment_fixed_size: 0
    .sgpr_count:     29
    .sgpr_spill_count: 0
    .symbol:         _ZN2ck27kernel_gemm_xdl_cshuffle_v1INS_43GridwiseGemm_k0mk1_k0nk1_mn_xdl_cshuffle_v1INS_13tensor_layout4gemm8RowMajorENS3_11ColumnMajorES4_aaiaaNS_16tensor_operation12element_wise11PassThroughES8_S8_LNS6_6device18GemmSpecializationE0ELNS_25InMemoryDataOperationEnumE0ELi1ELi256ELi256ELi128ELi64ELi16ELi16ELi16ELi16ELi8ELi4ENS_8SequenceIJLi4ELi64ELi1EEEENSC_IJLi1ELi0ELi2EEEESE_Li2ELi16ELi16ELb0ELi1ESD_SE_SE_Li2ELi8ELi8ELb0ELi1ELi1ELi1ENSC_IJLi1ELi32ELi1ELi8EEEELi4ELNS_13LoopSchedulerE0ELNS_15PipelineVersionE0EaaEELb1EEEvNT_8ArgumentE.kd
    .uniform_work_group_size: 1
    .uses_dynamic_stack: false
    .vgpr_count:     206
    .vgpr_spill_count: 0
    .wavefront_size: 64
  - .agpr_count:     0
    .args:
      - .offset:         0
        .size:           96
        .value_kind:     by_value
    .group_segment_fixed_size: 24672
    .kernarg_segment_align: 8
    .kernarg_segment_size: 96
    .language:       OpenCL C
    .language_version:
      - 2
      - 0
    .max_flat_workgroup_size: 256
    .name:           _ZN2ck27kernel_gemm_xdl_cshuffle_v1INS_43GridwiseGemm_k0mk1_k0nk1_mn_xdl_cshuffle_v1INS_13tensor_layout4gemm8RowMajorENS3_11ColumnMajorES4_aaiaaNS_16tensor_operation12element_wise11PassThroughES8_S8_LNS6_6device18GemmSpecializationE0ELNS_25InMemoryDataOperationEnumE0ELi1ELi256ELi256ELi128ELi64ELi16ELi16ELi16ELi16ELi8ELi4ENS_8SequenceIJLi4ELi64ELi1EEEENSC_IJLi1ELi0ELi2EEEESE_Li2ELi16ELi16ELb0ELi1ESD_SE_SE_Li2ELi8ELi8ELb0ELi1ELi1ELi1ENSC_IJLi1ELi32ELi1ELi8EEEELi4ELNS_13LoopSchedulerE0ELNS_15PipelineVersionE0EaaEELb0EEEvNT_8ArgumentE
    .private_segment_fixed_size: 0
    .sgpr_count:     28
    .sgpr_spill_count: 0
    .symbol:         _ZN2ck27kernel_gemm_xdl_cshuffle_v1INS_43GridwiseGemm_k0mk1_k0nk1_mn_xdl_cshuffle_v1INS_13tensor_layout4gemm8RowMajorENS3_11ColumnMajorES4_aaiaaNS_16tensor_operation12element_wise11PassThroughES8_S8_LNS6_6device18GemmSpecializationE0ELNS_25InMemoryDataOperationEnumE0ELi1ELi256ELi256ELi128ELi64ELi16ELi16ELi16ELi16ELi8ELi4ENS_8SequenceIJLi4ELi64ELi1EEEENSC_IJLi1ELi0ELi2EEEESE_Li2ELi16ELi16ELb0ELi1ESD_SE_SE_Li2ELi8ELi8ELb0ELi1ELi1ELi1ENSC_IJLi1ELi32ELi1ELi8EEEELi4ELNS_13LoopSchedulerE0ELNS_15PipelineVersionE0EaaEELb0EEEvNT_8ArgumentE.kd
    .uniform_work_group_size: 1
    .uses_dynamic_stack: false
    .vgpr_count:     117
    .vgpr_spill_count: 0
    .wavefront_size: 64
  - .agpr_count:     0
    .args:
      - .offset:         0
        .size:           96
        .value_kind:     by_value
    .group_segment_fixed_size: 0
    .kernarg_segment_align: 8
    .kernarg_segment_size: 96
    .language:       OpenCL C
    .language_version:
      - 2
      - 0
    .max_flat_workgroup_size: 256
    .name:           _ZN2ck27kernel_gemm_xdl_cshuffle_v1INS_43GridwiseGemm_k0mk1_k0nk1_mn_xdl_cshuffle_v1INS_13tensor_layout4gemm8RowMajorENS3_11ColumnMajorES4_aaiaaNS_16tensor_operation12element_wise11PassThroughES8_S8_LNS6_6device18GemmSpecializationE0ELNS_25InMemoryDataOperationEnumE0ELi1ELi256ELi256ELi128ELi64ELi16ELi16ELi16ELi16ELi8ELi2ENS_8SequenceIJLi4ELi64ELi1EEEENSC_IJLi1ELi0ELi2EEEESE_Li2ELi16ELi16ELb0ELi1ESD_SE_SE_Li2ELi8ELi8ELb0ELi1ELi1ELi1ENSC_IJLi1ELi32ELi1ELi8EEEELi4ELNS_13LoopSchedulerE0ELNS_15PipelineVersionE0EaaEELb1EEEvNT_8ArgumentE
    .private_segment_fixed_size: 0
    .sgpr_count:     4
    .sgpr_spill_count: 0
    .symbol:         _ZN2ck27kernel_gemm_xdl_cshuffle_v1INS_43GridwiseGemm_k0mk1_k0nk1_mn_xdl_cshuffle_v1INS_13tensor_layout4gemm8RowMajorENS3_11ColumnMajorES4_aaiaaNS_16tensor_operation12element_wise11PassThroughES8_S8_LNS6_6device18GemmSpecializationE0ELNS_25InMemoryDataOperationEnumE0ELi1ELi256ELi256ELi128ELi64ELi16ELi16ELi16ELi16ELi8ELi2ENS_8SequenceIJLi4ELi64ELi1EEEENSC_IJLi1ELi0ELi2EEEESE_Li2ELi16ELi16ELb0ELi1ESD_SE_SE_Li2ELi8ELi8ELb0ELi1ELi1ELi1ENSC_IJLi1ELi32ELi1ELi8EEEELi4ELNS_13LoopSchedulerE0ELNS_15PipelineVersionE0EaaEELb1EEEvNT_8ArgumentE.kd
    .uniform_work_group_size: 1
    .uses_dynamic_stack: false
    .vgpr_count:     0
    .vgpr_spill_count: 0
    .wavefront_size: 64
  - .agpr_count:     0
    .args:
      - .offset:         0
        .size:           96
        .value_kind:     by_value
    .group_segment_fixed_size: 0
    .kernarg_segment_align: 8
    .kernarg_segment_size: 96
    .language:       OpenCL C
    .language_version:
      - 2
      - 0
    .max_flat_workgroup_size: 256
    .name:           _ZN2ck27kernel_gemm_xdl_cshuffle_v1INS_43GridwiseGemm_k0mk1_k0nk1_mn_xdl_cshuffle_v1INS_13tensor_layout4gemm8RowMajorENS3_11ColumnMajorES4_aaiaaNS_16tensor_operation12element_wise11PassThroughES8_S8_LNS6_6device18GemmSpecializationE0ELNS_25InMemoryDataOperationEnumE0ELi1ELi256ELi256ELi128ELi64ELi16ELi16ELi16ELi16ELi8ELi2ENS_8SequenceIJLi4ELi64ELi1EEEENSC_IJLi1ELi0ELi2EEEESE_Li2ELi16ELi16ELb0ELi1ESD_SE_SE_Li2ELi8ELi8ELb0ELi1ELi1ELi1ENSC_IJLi1ELi32ELi1ELi8EEEELi4ELNS_13LoopSchedulerE0ELNS_15PipelineVersionE0EaaEELb0EEEvNT_8ArgumentE
    .private_segment_fixed_size: 0
    .sgpr_count:     4
    .sgpr_spill_count: 0
    .symbol:         _ZN2ck27kernel_gemm_xdl_cshuffle_v1INS_43GridwiseGemm_k0mk1_k0nk1_mn_xdl_cshuffle_v1INS_13tensor_layout4gemm8RowMajorENS3_11ColumnMajorES4_aaiaaNS_16tensor_operation12element_wise11PassThroughES8_S8_LNS6_6device18GemmSpecializationE0ELNS_25InMemoryDataOperationEnumE0ELi1ELi256ELi256ELi128ELi64ELi16ELi16ELi16ELi16ELi8ELi2ENS_8SequenceIJLi4ELi64ELi1EEEENSC_IJLi1ELi0ELi2EEEESE_Li2ELi16ELi16ELb0ELi1ESD_SE_SE_Li2ELi8ELi8ELb0ELi1ELi1ELi1ENSC_IJLi1ELi32ELi1ELi8EEEELi4ELNS_13LoopSchedulerE0ELNS_15PipelineVersionE0EaaEELb0EEEvNT_8ArgumentE.kd
    .uniform_work_group_size: 1
    .uses_dynamic_stack: false
    .vgpr_count:     0
    .vgpr_spill_count: 0
    .wavefront_size: 64
  - .agpr_count:     0
    .args:
      - .actual_access:  read_only
        .address_space:  global
        .offset:         0
        .size:           8
        .value_kind:     global_buffer
      - .actual_access:  read_only
        .address_space:  global
        .offset:         8
        .size:           8
        .value_kind:     global_buffer
      - .actual_access:  write_only
        .address_space:  global
        .offset:         16
        .size:           8
        .value_kind:     global_buffer
      - .offset:         24
        .size:           4
        .value_kind:     by_value
      - .offset:         28
        .size:           4
        .value_kind:     by_value
      - .offset:         32
        .size:           4
        .value_kind:     by_value
      - .offset:         36
        .size:           1
        .value_kind:     by_value
      - .offset:         37
        .size:           1
        .value_kind:     by_value
      - .offset:         38
        .size:           1
        .value_kind:     by_value
      - .offset:         40
        .size:           4
        .value_kind:     hidden_block_count_x
      - .offset:         44
        .size:           4
        .value_kind:     hidden_block_count_y
      - .offset:         48
        .size:           4
        .value_kind:     hidden_block_count_z
      - .offset:         52
        .size:           2
        .value_kind:     hidden_group_size_x
      - .offset:         54
        .size:           2
        .value_kind:     hidden_group_size_y
      - .offset:         56
        .size:           2
        .value_kind:     hidden_group_size_z
      - .offset:         58
        .size:           2
        .value_kind:     hidden_remainder_x
      - .offset:         60
        .size:           2
        .value_kind:     hidden_remainder_y
      - .offset:         62
        .size:           2
        .value_kind:     hidden_remainder_z
      - .offset:         80
        .size:           8
        .value_kind:     hidden_global_offset_x
      - .offset:         88
        .size:           8
        .value_kind:     hidden_global_offset_y
      - .offset:         96
        .size:           8
        .value_kind:     hidden_global_offset_z
      - .offset:         104
        .size:           2
        .value_kind:     hidden_grid_dims
    .group_segment_fixed_size: 0
    .kernarg_segment_align: 8
    .kernarg_segment_size: 296
    .language:       OpenCL C
    .language_version:
      - 2
      - 0
    .max_flat_workgroup_size: 256
    .name:           _ZN2ck17naive_gemm_kernelINS_13tensor_layout4gemm8RowMajorENS2_11ColumnMajorES3_aaaiNS_16tensor_operation12element_wise11PassThroughES7_S7_aaEEvPKT2_PKT3_PT4_iiiT6_T7_T8_
    .private_segment_fixed_size: 0
    .sgpr_count:     16
    .sgpr_spill_count: 0
    .symbol:         _ZN2ck17naive_gemm_kernelINS_13tensor_layout4gemm8RowMajorENS2_11ColumnMajorES3_aaaiNS_16tensor_operation12element_wise11PassThroughES7_S7_aaEEvPKT2_PKT3_PT4_iiiT6_T7_T8_.kd
    .uniform_work_group_size: 1
    .uses_dynamic_stack: false
    .vgpr_count:     16
    .vgpr_spill_count: 0
    .wavefront_size: 64
amdhsa.target:   amdgcn-amd-amdhsa--gfx90a
amdhsa.version:
  - 1
  - 2
...

	.end_amdgpu_metadata
